;; amdgpu-corpus repo=ROCm/rocFFT kind=compiled arch=gfx1030 opt=O3
	.text
	.amdgcn_target "amdgcn-amd-amdhsa--gfx1030"
	.amdhsa_code_object_version 6
	.protected	fft_rtc_fwd_len1352_factors_2_13_13_4_wgs_52_tpt_52_halfLds_half_ip_CI_sbrr_dirReg ; -- Begin function fft_rtc_fwd_len1352_factors_2_13_13_4_wgs_52_tpt_52_halfLds_half_ip_CI_sbrr_dirReg
	.globl	fft_rtc_fwd_len1352_factors_2_13_13_4_wgs_52_tpt_52_halfLds_half_ip_CI_sbrr_dirReg
	.p2align	8
	.type	fft_rtc_fwd_len1352_factors_2_13_13_4_wgs_52_tpt_52_halfLds_half_ip_CI_sbrr_dirReg,@function
fft_rtc_fwd_len1352_factors_2_13_13_4_wgs_52_tpt_52_halfLds_half_ip_CI_sbrr_dirReg: ; @fft_rtc_fwd_len1352_factors_2_13_13_4_wgs_52_tpt_52_halfLds_half_ip_CI_sbrr_dirReg
; %bb.0:
	s_clause 0x2
	s_load_dwordx2 s[14:15], s[4:5], 0x18
	s_load_dwordx4 s[8:11], s[4:5], 0x0
	s_load_dwordx2 s[12:13], s[4:5], 0x50
	v_mul_u32_u24_e32 v1, 0x4ed, v0
	v_mov_b32_e32 v3, 0
	v_add_nc_u32_sdwa v5, s6, v1 dst_sel:DWORD dst_unused:UNUSED_PAD src0_sel:DWORD src1_sel:WORD_1
	v_mov_b32_e32 v1, 0
	v_mov_b32_e32 v6, v3
	v_mov_b32_e32 v2, 0
	s_waitcnt lgkmcnt(0)
	s_load_dwordx2 s[2:3], s[14:15], 0x0
	v_cmp_lt_u64_e64 s0, s[10:11], 2
	s_and_b32 vcc_lo, exec_lo, s0
	s_cbranch_vccnz .LBB0_8
; %bb.1:
	s_load_dwordx2 s[0:1], s[4:5], 0x10
	v_mov_b32_e32 v1, 0
	s_add_u32 s6, s14, 8
	v_mov_b32_e32 v2, 0
	s_addc_u32 s7, s15, 0
	s_mov_b64 s[18:19], 1
	s_waitcnt lgkmcnt(0)
	s_add_u32 s16, s0, 8
	s_addc_u32 s17, s1, 0
.LBB0_2:                                ; =>This Inner Loop Header: Depth=1
	s_load_dwordx2 s[20:21], s[16:17], 0x0
                                        ; implicit-def: $vgpr7_vgpr8
	s_mov_b32 s0, exec_lo
	s_waitcnt lgkmcnt(0)
	v_or_b32_e32 v4, s21, v6
	v_cmpx_ne_u64_e32 0, v[3:4]
	s_xor_b32 s1, exec_lo, s0
	s_cbranch_execz .LBB0_4
; %bb.3:                                ;   in Loop: Header=BB0_2 Depth=1
	v_cvt_f32_u32_e32 v4, s20
	v_cvt_f32_u32_e32 v7, s21
	s_sub_u32 s0, 0, s20
	s_subb_u32 s22, 0, s21
	v_fmac_f32_e32 v4, 0x4f800000, v7
	v_rcp_f32_e32 v4, v4
	v_mul_f32_e32 v4, 0x5f7ffffc, v4
	v_mul_f32_e32 v7, 0x2f800000, v4
	v_trunc_f32_e32 v7, v7
	v_fmac_f32_e32 v4, 0xcf800000, v7
	v_cvt_u32_f32_e32 v7, v7
	v_cvt_u32_f32_e32 v4, v4
	v_mul_lo_u32 v8, s0, v7
	v_mul_hi_u32 v9, s0, v4
	v_mul_lo_u32 v10, s22, v4
	v_add_nc_u32_e32 v8, v9, v8
	v_mul_lo_u32 v9, s0, v4
	v_add_nc_u32_e32 v8, v8, v10
	v_mul_hi_u32 v10, v4, v9
	v_mul_lo_u32 v11, v4, v8
	v_mul_hi_u32 v12, v4, v8
	v_mul_hi_u32 v13, v7, v9
	v_mul_lo_u32 v9, v7, v9
	v_mul_hi_u32 v14, v7, v8
	v_mul_lo_u32 v8, v7, v8
	v_add_co_u32 v10, vcc_lo, v10, v11
	v_add_co_ci_u32_e32 v11, vcc_lo, 0, v12, vcc_lo
	v_add_co_u32 v9, vcc_lo, v10, v9
	v_add_co_ci_u32_e32 v9, vcc_lo, v11, v13, vcc_lo
	v_add_co_ci_u32_e32 v10, vcc_lo, 0, v14, vcc_lo
	v_add_co_u32 v8, vcc_lo, v9, v8
	v_add_co_ci_u32_e32 v9, vcc_lo, 0, v10, vcc_lo
	v_add_co_u32 v4, vcc_lo, v4, v8
	v_add_co_ci_u32_e32 v7, vcc_lo, v7, v9, vcc_lo
	v_mul_hi_u32 v8, s0, v4
	v_mul_lo_u32 v10, s22, v4
	v_mul_lo_u32 v9, s0, v7
	v_add_nc_u32_e32 v8, v8, v9
	v_mul_lo_u32 v9, s0, v4
	v_add_nc_u32_e32 v8, v8, v10
	v_mul_hi_u32 v10, v4, v9
	v_mul_lo_u32 v11, v4, v8
	v_mul_hi_u32 v12, v4, v8
	v_mul_hi_u32 v13, v7, v9
	v_mul_lo_u32 v9, v7, v9
	v_mul_hi_u32 v14, v7, v8
	v_mul_lo_u32 v8, v7, v8
	v_add_co_u32 v10, vcc_lo, v10, v11
	v_add_co_ci_u32_e32 v11, vcc_lo, 0, v12, vcc_lo
	v_add_co_u32 v9, vcc_lo, v10, v9
	v_add_co_ci_u32_e32 v9, vcc_lo, v11, v13, vcc_lo
	v_add_co_ci_u32_e32 v10, vcc_lo, 0, v14, vcc_lo
	v_add_co_u32 v8, vcc_lo, v9, v8
	v_add_co_ci_u32_e32 v9, vcc_lo, 0, v10, vcc_lo
	v_add_co_u32 v4, vcc_lo, v4, v8
	v_add_co_ci_u32_e32 v11, vcc_lo, v7, v9, vcc_lo
	v_mul_hi_u32 v13, v5, v4
	v_mad_u64_u32 v[9:10], null, v6, v4, 0
	v_mad_u64_u32 v[7:8], null, v5, v11, 0
	;; [unrolled: 1-line block ×3, first 2 shown]
	v_add_co_u32 v4, vcc_lo, v13, v7
	v_add_co_ci_u32_e32 v7, vcc_lo, 0, v8, vcc_lo
	v_add_co_u32 v4, vcc_lo, v4, v9
	v_add_co_ci_u32_e32 v4, vcc_lo, v7, v10, vcc_lo
	v_add_co_ci_u32_e32 v7, vcc_lo, 0, v12, vcc_lo
	v_add_co_u32 v4, vcc_lo, v4, v11
	v_add_co_ci_u32_e32 v9, vcc_lo, 0, v7, vcc_lo
	v_mul_lo_u32 v10, s21, v4
	v_mad_u64_u32 v[7:8], null, s20, v4, 0
	v_mul_lo_u32 v11, s20, v9
	v_sub_co_u32 v7, vcc_lo, v5, v7
	v_add3_u32 v8, v8, v11, v10
	v_sub_nc_u32_e32 v10, v6, v8
	v_subrev_co_ci_u32_e64 v10, s0, s21, v10, vcc_lo
	v_add_co_u32 v11, s0, v4, 2
	v_add_co_ci_u32_e64 v12, s0, 0, v9, s0
	v_sub_co_u32 v13, s0, v7, s20
	v_sub_co_ci_u32_e32 v8, vcc_lo, v6, v8, vcc_lo
	v_subrev_co_ci_u32_e64 v10, s0, 0, v10, s0
	v_cmp_le_u32_e32 vcc_lo, s20, v13
	v_cmp_eq_u32_e64 s0, s21, v8
	v_cndmask_b32_e64 v13, 0, -1, vcc_lo
	v_cmp_le_u32_e32 vcc_lo, s21, v10
	v_cndmask_b32_e64 v14, 0, -1, vcc_lo
	v_cmp_le_u32_e32 vcc_lo, s20, v7
	;; [unrolled: 2-line block ×3, first 2 shown]
	v_cndmask_b32_e64 v15, 0, -1, vcc_lo
	v_cmp_eq_u32_e32 vcc_lo, s21, v10
	v_cndmask_b32_e64 v7, v15, v7, s0
	v_cndmask_b32_e32 v10, v14, v13, vcc_lo
	v_add_co_u32 v13, vcc_lo, v4, 1
	v_add_co_ci_u32_e32 v14, vcc_lo, 0, v9, vcc_lo
	v_cmp_ne_u32_e32 vcc_lo, 0, v10
	v_cndmask_b32_e32 v8, v14, v12, vcc_lo
	v_cndmask_b32_e32 v10, v13, v11, vcc_lo
	v_cmp_ne_u32_e32 vcc_lo, 0, v7
	v_cndmask_b32_e32 v8, v9, v8, vcc_lo
	v_cndmask_b32_e32 v7, v4, v10, vcc_lo
.LBB0_4:                                ;   in Loop: Header=BB0_2 Depth=1
	s_andn2_saveexec_b32 s0, s1
	s_cbranch_execz .LBB0_6
; %bb.5:                                ;   in Loop: Header=BB0_2 Depth=1
	v_cvt_f32_u32_e32 v4, s20
	s_sub_i32 s1, 0, s20
	v_rcp_iflag_f32_e32 v4, v4
	v_mul_f32_e32 v4, 0x4f7ffffe, v4
	v_cvt_u32_f32_e32 v4, v4
	v_mul_lo_u32 v7, s1, v4
	v_mul_hi_u32 v7, v4, v7
	v_add_nc_u32_e32 v4, v4, v7
	v_mul_hi_u32 v4, v5, v4
	v_mul_lo_u32 v7, v4, s20
	v_add_nc_u32_e32 v8, 1, v4
	v_sub_nc_u32_e32 v7, v5, v7
	v_subrev_nc_u32_e32 v9, s20, v7
	v_cmp_le_u32_e32 vcc_lo, s20, v7
	v_cndmask_b32_e32 v7, v7, v9, vcc_lo
	v_cndmask_b32_e32 v4, v4, v8, vcc_lo
	v_cmp_le_u32_e32 vcc_lo, s20, v7
	v_add_nc_u32_e32 v8, 1, v4
	v_cndmask_b32_e32 v7, v4, v8, vcc_lo
	v_mov_b32_e32 v8, v3
.LBB0_6:                                ;   in Loop: Header=BB0_2 Depth=1
	s_or_b32 exec_lo, exec_lo, s0
	s_load_dwordx2 s[0:1], s[6:7], 0x0
	v_mul_lo_u32 v4, v8, s20
	v_mul_lo_u32 v11, v7, s21
	v_mad_u64_u32 v[9:10], null, v7, s20, 0
	s_add_u32 s18, s18, 1
	s_addc_u32 s19, s19, 0
	s_add_u32 s6, s6, 8
	s_addc_u32 s7, s7, 0
	;; [unrolled: 2-line block ×3, first 2 shown]
	v_add3_u32 v4, v10, v11, v4
	v_sub_co_u32 v5, vcc_lo, v5, v9
	v_sub_co_ci_u32_e32 v4, vcc_lo, v6, v4, vcc_lo
	s_waitcnt lgkmcnt(0)
	v_mul_lo_u32 v6, s1, v5
	v_mul_lo_u32 v4, s0, v4
	v_mad_u64_u32 v[1:2], null, s0, v5, v[1:2]
	v_cmp_ge_u64_e64 s0, s[18:19], s[10:11]
	s_and_b32 vcc_lo, exec_lo, s0
	v_add3_u32 v2, v6, v2, v4
	s_cbranch_vccnz .LBB0_9
; %bb.7:                                ;   in Loop: Header=BB0_2 Depth=1
	v_mov_b32_e32 v5, v7
	v_mov_b32_e32 v6, v8
	s_branch .LBB0_2
.LBB0_8:
	v_mov_b32_e32 v8, v6
	v_mov_b32_e32 v7, v5
.LBB0_9:
	s_lshl_b64 s[0:1], s[10:11], 3
	v_mul_hi_u32 v3, 0x4ec4ec5, v0
	s_add_u32 s0, s14, s0
	s_addc_u32 s1, s15, s1
	s_load_dwordx2 s[4:5], s[4:5], 0x20
	s_load_dwordx2 s[0:1], s[0:1], 0x0
                                        ; implicit-def: $vgpr38
                                        ; implicit-def: $vgpr37
                                        ; implicit-def: $vgpr39
                                        ; implicit-def: $vgpr40
                                        ; implicit-def: $vgpr41
                                        ; implicit-def: $vgpr36
	v_mul_u32_u24_e32 v3, 52, v3
	v_sub_nc_u32_e32 v26, v0, v3
	v_add_nc_u32_e32 v32, 52, v26
	v_add_nc_u32_e32 v31, 0x68, v26
	;; [unrolled: 1-line block ×5, first 2 shown]
	s_waitcnt lgkmcnt(0)
	v_cmp_gt_u64_e32 vcc_lo, s[4:5], v[7:8]
	v_mul_lo_u32 v3, s0, v8
	v_mul_lo_u32 v5, s1, v7
	v_mad_u64_u32 v[0:1], null, s0, v7, v[1:2]
	v_cmp_le_u64_e64 s0, s[4:5], v[7:8]
	v_add_nc_u32_e32 v4, 0x1a0, v26
	v_add_nc_u32_e32 v2, 0x208, v26
                                        ; implicit-def: $sgpr4
	v_add3_u32 v1, v5, v1, v3
	v_add_nc_u32_e32 v3, 0x270, v26
	s_and_saveexec_b32 s1, s0
	s_xor_b32 s0, exec_lo, s1
; %bb.10:
	v_add_nc_u32_e32 v38, 52, v26
	v_add_nc_u32_e32 v37, 0x68, v26
	;; [unrolled: 1-line block ×9, first 2 shown]
	s_mov_b32 s4, 0
; %bb.11:
	s_or_saveexec_b32 s1, s0
	v_lshlrev_b64 v[24:25], 2, v[0:1]
	v_mov_b32_e32 v9, s4
	v_add_nc_u32_e32 v35, 0x2a4, v26
	v_add_nc_u32_e32 v34, 0x2d8, v26
	;; [unrolled: 1-line block ×3, first 2 shown]
	v_or_b32_e32 v29, 0x340, v26
	v_mov_b32_e32 v10, s4
	v_mov_b32_e32 v1, s4
	;; [unrolled: 1-line block ×12, first 2 shown]
                                        ; implicit-def: $vgpr49
                                        ; implicit-def: $vgpr14
                                        ; implicit-def: $vgpr48
                                        ; implicit-def: $vgpr13
                                        ; implicit-def: $vgpr86
                                        ; implicit-def: $vgpr12
                                        ; implicit-def: $vgpr87
                                        ; implicit-def: $vgpr11
                                        ; implicit-def: $vgpr83
                                        ; implicit-def: $vgpr42
                                        ; implicit-def: $vgpr82
                                        ; implicit-def: $vgpr23
                                        ; implicit-def: $vgpr84
                                        ; implicit-def: $vgpr21
                                        ; implicit-def: $vgpr85
                                        ; implicit-def: $vgpr19
                                        ; implicit-def: $vgpr81
                                        ; implicit-def: $vgpr43
                                        ; implicit-def: $vgpr22
                                        ; implicit-def: $vgpr44
                                        ; implicit-def: $vgpr54
                                        ; implicit-def: $vgpr47
                                        ; implicit-def: $vgpr72
                                        ; implicit-def: $vgpr45
                                        ; implicit-def: $vgpr78
                                        ; implicit-def: $vgpr46
	s_xor_b32 exec_lo, exec_lo, s1
	s_cbranch_execz .LBB0_13
; %bb.12:
	v_mad_u64_u32 v[0:1], null, s2, v26, 0
	v_mad_u64_u32 v[7:8], null, s2, v32, 0
	;; [unrolled: 1-line block ×3, first 2 shown]
	v_add_co_u32 v58, s0, s12, v24
	v_mad_u64_u32 v[9:10], null, s3, v26, v[1:2]
	v_mad_u64_u32 v[10:11], null, s2, v34, 0
	v_mov_b32_e32 v1, v8
	v_mad_u64_u32 v[12:13], null, s3, v35, v[6:7]
	v_add_co_ci_u32_e64 v59, s0, s13, v25, s0
	v_mad_u64_u32 v[13:14], null, s3, v32, v[1:2]
	v_mov_b32_e32 v1, v9
	v_mad_u64_u32 v[14:15], null, s2, v31, 0
	v_mov_b32_e32 v9, v11
	v_mov_b32_e32 v6, v12
	v_lshlrev_b64 v[0:1], 2, v[0:1]
	v_mov_b32_e32 v8, v13
	v_mad_u64_u32 v[38:39], null, s2, v28, 0
	v_mad_u64_u32 v[11:12], null, s3, v34, v[9:10]
	;; [unrolled: 1-line block ×3, first 2 shown]
	v_mov_b32_e32 v9, v15
	v_lshlrev_b64 v[5:6], 2, v[5:6]
	v_add_co_u32 v0, s0, v58, v0
	v_lshlrev_b64 v[7:8], 2, v[7:8]
	v_mad_u64_u32 v[15:16], null, s3, v31, v[9:10]
	v_lshlrev_b64 v[10:11], 2, v[10:11]
	v_mov_b32_e32 v9, v13
	v_add_co_ci_u32_e64 v1, s0, v59, v1, s0
	v_add_co_u32 v5, s0, v58, v5
	v_add_co_ci_u32_e64 v6, s0, v59, v6, s0
	v_mad_u64_u32 v[16:17], null, s2, v30, 0
	v_add_co_u32 v7, s0, v58, v7
	v_mad_u64_u32 v[18:19], null, s3, v33, v[9:10]
	v_add_co_ci_u32_e64 v8, s0, v59, v8, s0
	v_add_co_u32 v21, s0, v58, v10
	v_add_co_ci_u32_e64 v22, s0, v59, v11, s0
	v_lshlrev_b64 v[10:11], 2, v[14:15]
	v_mad_u64_u32 v[19:20], null, s2, v29, 0
	v_mov_b32_e32 v9, v17
	v_mov_b32_e32 v13, v18
	v_mad_u64_u32 v[44:45], null, s2, v27, 0
	v_add_co_u32 v36, s0, v58, v10
	v_mad_u64_u32 v[14:15], null, s3, v30, v[9:10]
	v_add_co_ci_u32_e64 v37, s0, v59, v11, s0
	v_lshlrev_b64 v[10:11], 2, v[12:13]
	v_mov_b32_e32 v9, v20
	v_add_nc_u32_e32 v23, 0x3dc, v26
	v_add_nc_u32_e32 v54, 0x478, v26
	v_mov_b32_e32 v17, v14
	v_add_nc_u32_e32 v14, 0x374, v26
	v_mad_u64_u32 v[12:13], null, s3, v29, v[9:10]
	v_add_co_u32 v40, s0, v58, v10
	v_add_co_ci_u32_e64 v41, s0, v59, v11, s0
	v_lshlrev_b64 v[9:10], 2, v[16:17]
	v_mov_b32_e32 v11, v39
	v_mov_b32_e32 v20, v12
	v_mad_u64_u32 v[15:16], null, s2, v14, 0
	v_mad_u64_u32 v[52:53], null, s2, v54, 0
	v_lshlrev_b64 v[12:13], 2, v[19:20]
	v_mad_u64_u32 v[17:18], null, s3, v28, v[11:12]
	v_add_co_u32 v18, s0, v58, v9
	v_mov_b32_e32 v9, v16
	v_add_co_ci_u32_e64 v19, s0, v59, v10, s0
	v_add_co_u32 v42, s0, v58, v12
	v_add_co_ci_u32_e64 v43, s0, v59, v13, s0
	v_mov_b32_e32 v39, v17
	v_mad_u64_u32 v[16:17], null, s3, v14, v[9:10]
	s_clause 0x7
	global_load_dword v9, v[0:1], off
	global_load_dword v14, v[5:6], off
	;; [unrolled: 1-line block ×8, first 2 shown]
	v_add_nc_u32_e32 v21, 0x3a8, v26
	v_mov_b32_e32 v7, v45
	v_add_nc_u32_e32 v36, 0x138, v26
	v_add_nc_u32_e32 v42, 0x410, v26
	;; [unrolled: 1-line block ×3, first 2 shown]
	v_mad_u64_u32 v[17:18], null, s2, v21, 0
	v_mad_u64_u32 v[7:8], null, s3, v27, v[7:8]
	;; [unrolled: 1-line block ×3, first 2 shown]
	v_lshlrev_b64 v[5:6], 2, v[38:39]
	v_mad_u64_u32 v[39:40], null, s2, v42, 0
	v_mov_b32_e32 v8, v18
	v_mov_b32_e32 v45, v7
	v_lshlrev_b64 v[15:16], 2, v[15:16]
	v_add_co_u32 v5, s0, v58, v5
	v_add_co_ci_u32_e64 v6, s0, v59, v6, s0
	v_lshlrev_b64 v[37:38], 2, v[44:45]
	v_add_co_u32 v15, s0, v58, v15
	v_add_co_ci_u32_e64 v16, s0, v59, v16, s0
	v_add_co_u32 v37, s0, v58, v37
	v_add_co_ci_u32_e64 v38, s0, v59, v38, s0
	s_waitcnt vmcnt(7)
	v_mad_u64_u32 v[7:8], null, s3, v21, v[8:9]
	v_mov_b32_e32 v8, v20
	v_mad_u64_u32 v[21:22], null, s2, v23, 0
	s_waitcnt vmcnt(2)
	v_lshrrev_b32_e32 v86, 16, v12
	s_waitcnt vmcnt(0)
	v_lshrrev_b32_e32 v87, 16, v11
	v_mov_b32_e32 v18, v7
	v_mad_u64_u32 v[7:8], null, s3, v36, v[8:9]
	v_mov_b32_e32 v8, v22
	v_lshlrev_b64 v[17:18], 2, v[17:18]
	v_mad_u64_u32 v[22:23], null, s3, v23, v[8:9]
	v_mov_b32_e32 v20, v7
	v_mad_u64_u32 v[7:8], null, s2, v41, 0
	v_mov_b32_e32 v23, v40
	v_add_co_u32 v17, s0, v58, v17
	v_lshlrev_b64 v[19:20], 2, v[19:20]
	v_lshlrev_b64 v[21:22], 2, v[21:22]
	v_add_co_ci_u32_e64 v18, s0, v59, v18, s0
	v_mad_u64_u32 v[40:41], null, s3, v41, v[8:9]
	v_mad_u64_u32 v[41:42], null, s3, v42, v[23:24]
	;; [unrolled: 1-line block ×3, first 2 shown]
	v_add_co_u32 v19, s0, v58, v19
	v_mov_b32_e32 v8, v40
	v_add_co_ci_u32_e64 v20, s0, v59, v20, s0
	v_mov_b32_e32 v40, v41
	v_mov_b32_e32 v23, v43
	v_add_nc_u32_e32 v41, 0x444, v26
	v_lshlrev_b64 v[7:8], 2, v[7:8]
	v_add_co_u32 v21, s0, v58, v21
	v_mad_u64_u32 v[43:44], null, s3, v4, v[23:24]
	v_mad_u64_u32 v[44:45], null, s2, v41, 0
	v_lshlrev_b64 v[39:40], 2, v[39:40]
	v_add_co_ci_u32_e64 v22, s0, v59, v22, s0
	v_add_co_u32 v46, s0, v58, v7
	v_add_co_ci_u32_e64 v47, s0, v59, v8, s0
	v_mov_b32_e32 v7, v45
	v_add_co_u32 v39, s0, v58, v39
	v_lshlrev_b64 v[48:49], 2, v[42:43]
	v_add_co_ci_u32_e64 v40, s0, v59, v40, s0
	v_mad_u64_u32 v[41:42], null, s3, v41, v[7:8]
	s_clause 0x7
	global_load_dword v8, v[5:6], off
	global_load_dword v42, v[15:16], off
	;; [unrolled: 1-line block ×8, first 2 shown]
	v_add_nc_u32_e32 v43, 0x1d4, v26
	v_mov_b32_e32 v16, v53
	v_add_co_u32 v37, s0, v58, v48
	v_add_co_ci_u32_e64 v38, s0, v59, v49, s0
	v_mad_u64_u32 v[50:51], null, s2, v43, 0
	v_mov_b32_e32 v45, v41
	v_add_nc_u32_e32 v20, 0x4ac, v26
	v_add_nc_u32_e32 v22, 0x23c, v26
	v_lshlrev_b64 v[17:18], 2, v[44:45]
	v_mov_b32_e32 v15, v51
	v_mad_u64_u32 v[45:46], null, s2, v20, 0
	v_mad_u64_u32 v[39:40], null, s3, v43, v[15:16]
	v_mad_u64_u32 v[15:16], null, s3, v54, v[16:17]
	v_mad_u64_u32 v[40:41], null, s2, v2, 0
	v_add_co_u32 v16, s0, v58, v17
	v_add_co_ci_u32_e64 v17, s0, v59, v18, s0
	v_mov_b32_e32 v53, v15
	v_mov_b32_e32 v51, v39
	;; [unrolled: 1-line block ×3, first 2 shown]
	global_load_dword v43, v[16:17], off
	v_add_nc_u32_e32 v18, 0x4e0, v26
	v_lshlrev_b64 v[16:17], 2, v[52:53]
	v_mad_u64_u32 v[52:53], null, s2, v22, 0
	v_mad_u64_u32 v[54:55], null, s2, v3, 0
	;; [unrolled: 1-line block ×3, first 2 shown]
	v_mov_b32_e32 v15, v46
	v_add_co_u32 v16, s0, v58, v16
	v_lshlrev_b64 v[48:49], 2, v[50:51]
	v_mad_u64_u32 v[50:51], null, s2, v18, 0
	v_add_co_ci_u32_e64 v17, s0, v59, v17, s0
	v_mov_b32_e32 v41, v47
	v_mad_u64_u32 v[46:47], null, s3, v20, v[15:16]
	v_add_nc_u32_e32 v20, 0x514, v26
	global_load_dword v44, v[16:17], off
	v_lshlrev_b64 v[15:16], 2, v[40:41]
	v_mov_b32_e32 v17, v51
	v_add_co_u32 v48, s0, v58, v48
	v_mad_u64_u32 v[39:40], null, s2, v20, 0
	v_mad_u64_u32 v[17:18], null, s3, v18, v[17:18]
	v_add_co_ci_u32_e64 v49, s0, v59, v49, s0
	v_add_co_u32 v56, s0, v58, v15
	v_mov_b32_e32 v18, v40
	v_add_co_ci_u32_e64 v57, s0, v59, v16, s0
	v_mov_b32_e32 v51, v17
	v_mov_b32_e32 v15, v53
	v_mov_b32_e32 v41, v27
	s_waitcnt vmcnt(8)
	v_lshrrev_b32_e32 v83, 16, v42
	s_waitcnt vmcnt(6)
	v_lshrrev_b32_e32 v82, 16, v23
	;; [unrolled: 2-line block ×3, first 2 shown]
	s_waitcnt vmcnt(2)
	v_mad_u64_u32 v[16:17], null, s3, v20, v[18:19]
	v_lshlrev_b64 v[17:18], 2, v[45:46]
	v_mov_b32_e32 v20, v55
	v_lshrrev_b32_e32 v85, 16, v19
	v_mad_u64_u32 v[45:46], null, s3, v22, v[15:16]
	v_mov_b32_e32 v40, v16
	v_lshlrev_b64 v[46:47], 2, v[50:51]
	v_mad_u64_u32 v[50:51], null, s3, v3, v[20:21]
	v_add_co_u32 v15, s0, v58, v17
	v_add_co_ci_u32_e64 v16, s0, v59, v18, s0
	v_lshlrev_b64 v[17:18], 2, v[39:40]
	v_mov_b32_e32 v53, v45
	v_add_co_u32 v39, s0, v58, v46
	v_add_co_ci_u32_e64 v40, s0, v59, v47, s0
	v_mov_b32_e32 v55, v50
	v_add_co_u32 v17, s0, v58, v17
	v_lshlrev_b64 v[50:51], 2, v[52:53]
	v_add_co_ci_u32_e64 v18, s0, v59, v18, s0
	s_clause 0x1
	global_load_dword v47, v[15:16], off
	global_load_dword v45, v[39:40], off
	v_lshlrev_b64 v[15:16], 2, v[54:55]
	global_load_dword v46, v[17:18], off
	v_add_co_u32 v17, s0, v58, v50
	v_add_co_ci_u32_e64 v18, s0, v59, v51, s0
	v_add_co_u32 v39, s0, v58, v15
	v_add_co_ci_u32_e64 v40, s0, v59, v16, s0
	s_clause 0x4
	global_load_dword v15, v[17:18], off
	global_load_dword v16, v[56:57], off
	;; [unrolled: 1-line block ×5, first 2 shown]
	v_mov_b32_e32 v40, v28
	v_mov_b32_e32 v39, v30
	;; [unrolled: 1-line block ×3, first 2 shown]
	v_lshrrev_b32_e32 v49, 16, v14
	v_lshrrev_b32_e32 v48, 16, v13
	s_waitcnt vmcnt(9)
	v_lshrrev_b32_e32 v81, 16, v43
	v_mov_b32_e32 v38, v32
	s_waitcnt vmcnt(8)
	v_lshrrev_b32_e32 v22, 16, v44
	s_waitcnt vmcnt(7)
	v_lshrrev_b32_e32 v54, 16, v47
	;; [unrolled: 2-line block ×4, first 2 shown]
.LBB0_13:
	s_or_b32 exec_lo, exec_lo, s1
	v_lshrrev_b32_e32 v50, 16, v9
	v_sub_f16_e32 v14, v9, v14
	v_lshrrev_b32_e32 v51, 16, v10
	v_sub_f16_e32 v13, v10, v13
	v_sub_f16_e32 v12, v1, v12
	;; [unrolled: 1-line block ×4, first 2 shown]
	v_fma_f16 v9, v9, 2.0, -v14
	v_sub_f16_e32 v59, v51, v48
	v_fma_f16 v10, v10, 2.0, -v13
	v_sub_f16_e32 v48, v8, v42
	;; [unrolled: 2-line block ×4, first 2 shown]
	v_fma_f16 v61, v50, 2.0, -v57
	v_fma_f16 v50, v8, 2.0, -v48
	v_sub_f16_e32 v19, v5, v19
	v_pack_b32_f16 v9, v9, v14
	v_lshl_add_u32 v14, v26, 2, 0
	v_pack_b32_f16 v10, v10, v13
	v_lshl_add_u32 v13, v38, 2, 0
	;; [unrolled: 2-line block ×3, first 2 shown]
	v_fma_f16 v62, v51, 2.0, -v59
	v_fma_f16 v51, v7, 2.0, -v23
	;; [unrolled: 1-line block ×3, first 2 shown]
	v_lshl_add_u32 v88, v39, 2, 0
	v_pack_b32_f16 v11, v49, v11
	s_waitcnt vmcnt(1)
	v_sub_f16_e32 v52, v20, v43
	v_fma_f16 v56, v5, 2.0, -v19
	ds_write_b32 v14, v9
	ds_write_b32 v13, v10
	;; [unrolled: 1-line block ×3, first 2 shown]
	v_lshl_add_u32 v43, v40, 2, 0
	v_pack_b32_f16 v12, v50, v48
	v_lshl_add_u32 v89, v41, 2, 0
	v_pack_b32_f16 v23, v51, v23
	v_sub_f16_e32 v44, v18, v44
	v_sub_f16_e32 v53, v16, v47
	s_waitcnt vmcnt(0)
	v_sub_f16_e32 v64, v17, v46
	ds_write_b32 v88, v11
	v_lshl_add_u32 v48, v36, 2, 0
	v_pack_b32_f16 v11, v55, v21
	v_sub_f16_e32 v45, v15, v45
	ds_write_b32 v43, v12
	ds_write_b32 v89, v23
	v_pack_b32_f16 v12, v56, v19
	v_fma_f16 v58, v20, 2.0, -v52
	v_fma_f16 v60, v18, 2.0, -v44
	;; [unrolled: 1-line block ×4, first 2 shown]
	v_lshlrev_b32_e32 v47, 1, v40
	v_lshlrev_b32_e32 v49, 1, v36
	v_lshl_add_u32 v90, v4, 2, 0
	ds_write_b32 v48, v11
	ds_write_b32 v14, v12 offset:1456
	v_lshlrev_b32_e32 v4, 1, v4
	v_lshl_add_u32 v11, v2, 2, 0
	v_lshlrev_b32_e32 v2, 1, v2
	v_lshrrev_b32_e32 v1, 16, v1
	v_fma_f16 v9, v15, 2.0, -v45
	v_lshlrev_b32_e32 v46, 1, v37
	v_lshl_add_u32 v91, v3, 2, 0
	v_lshlrev_b32_e32 v3, 1, v3
	v_pack_b32_f16 v19, v58, v52
	v_pack_b32_f16 v21, v60, v44
	;; [unrolled: 1-line block ×4, first 2 shown]
	v_lshl_add_u32 v44, v26, 1, 0
	v_sub_nc_u32_e32 v55, v48, v49
	v_sub_nc_u32_e32 v56, v90, v4
	;; [unrolled: 1-line block ×4, first 2 shown]
	v_pack_b32_f16 v2, v61, v57
	v_lshrrev_b32_e32 v0, 16, v0
	v_sub_f16_e32 v4, v1, v86
	v_pack_b32_f16 v9, v9, v45
	v_sub_nc_u32_e32 v50, v42, v46
	v_sub_nc_u32_e32 v52, v91, v3
	v_pack_b32_f16 v3, v62, v59
	v_lshl_add_u32 v45, v38, 1, 0
	ds_write_b32 v90, v19
	ds_write_b32 v14, v21 offset:1872
	ds_write_b32 v11, v12
	ds_write_b32 v14, v9 offset:2288
	ds_write_b32 v91, v10
	s_waitcnt lgkmcnt(0)
	s_barrier
	buffer_gl0_inv
	ds_read_u16 v23, v55
	ds_read_u16 v21, v56
	;; [unrolled: 1-line block ×5, first 2 shown]
	ds_read_u16 v77, v44 offset:312
	ds_read_u16 v76, v44 offset:520
	;; [unrolled: 1-line block ×15, first 2 shown]
	ds_read_u16 v19, v51
	ds_read_u16 v73, v50
	ds_read_u16 v12, v45
	ds_read_u16 v74, v44 offset:2600
	ds_read_u16 v80, v44 offset:2496
	;; [unrolled: 1-line block ×3, first 2 shown]
	s_waitcnt lgkmcnt(0)
	s_barrier
	v_sub_f16_e32 v9, v0, v87
	buffer_gl0_inv
	v_fma_f16 v1, v1, 2.0, -v4
	ds_write_b32 v14, v2
	ds_write_b32 v13, v3
	v_lshrrev_b32_e32 v2, 16, v8
	v_fma_f16 v0, v0, 2.0, -v9
	v_lshrrev_b32_e32 v3, 16, v7
	v_pack_b32_f16 v1, v1, v4
	v_lshrrev_b32_e32 v4, 16, v6
	v_sub_f16_e32 v6, v2, v83
	v_lshrrev_b32_e32 v5, 16, v5
	v_pack_b32_f16 v0, v0, v9
	v_sub_f16_e32 v7, v3, v82
	ds_write_b32 v42, v1
	v_fma_f16 v1, v2, 2.0, -v6
	v_sub_f16_e32 v2, v5, v85
	v_sub_f16_e32 v8, v4, v84
	v_fma_f16 v3, v3, 2.0, -v7
	ds_write_b32 v88, v0
	v_pack_b32_f16 v0, v1, v6
	v_fma_f16 v1, v5, 2.0, -v2
	v_lshrrev_b32_e32 v5, 16, v20
	v_fma_f16 v4, v4, 2.0, -v8
	v_pack_b32_f16 v3, v3, v7
	ds_write_b32 v43, v0
	v_pack_b32_f16 v0, v1, v2
	v_sub_f16_e32 v1, v5, v81
	v_lshrrev_b32_e32 v2, 16, v18
	v_pack_b32_f16 v4, v4, v8
	ds_write_b32 v89, v3
	ds_write_b32 v48, v4
	v_lshrrev_b32_e32 v3, 16, v15
	v_fma_f16 v4, v5, 2.0, -v1
	v_sub_f16_e32 v5, v2, v22
	v_lshrrev_b32_e32 v6, 16, v17
	ds_write_b32 v14, v0 offset:1456
	v_lshrrev_b32_e32 v0, 16, v16
	v_sub_f16_e32 v8, v3, v72
	v_pack_b32_f16 v1, v4, v1
	v_fma_f16 v2, v2, 2.0, -v5
	v_sub_f16_e32 v4, v6, v78
	v_and_b32_e32 v13, 1, v26
	v_sub_f16_e32 v7, v0, v54
	v_fma_f16 v3, v3, 2.0, -v8
	ds_write_b32 v90, v1
	v_fma_f16 v1, v6, 2.0, -v4
	v_pack_b32_f16 v2, v2, v5
	v_mul_u32_u24_e32 v5, 12, v13
	v_fma_f16 v0, v0, 2.0, -v7
	v_pack_b32_f16 v3, v3, v8
	v_pack_b32_f16 v1, v1, v4
	v_cmp_gt_u32_e64 s0, 26, v26
	v_lshlrev_b32_e32 v8, 2, v5
	v_pack_b32_f16 v0, v0, v7
	ds_write_b32 v14, v2 offset:1872
	ds_write_b32 v11, v0
	ds_write_b32 v14, v3 offset:2288
	ds_write_b32 v91, v1
	s_waitcnt lgkmcnt(0)
	s_barrier
	buffer_gl0_inv
	s_clause 0x2
	global_load_dwordx4 v[0:3], v8, s[8:9]
	global_load_dwordx4 v[4:7], v8, s[8:9] offset:16
	global_load_dwordx4 v[8:11], v8, s[8:9] offset:32
	ds_read_u16 v78, v55
	ds_read_u16 v85, v56
	;; [unrolled: 1-line block ×6, first 2 shown]
	ds_read_u16 v90, v44 offset:312
	ds_read_u16 v91, v44 offset:520
	;; [unrolled: 1-line block ×16, first 2 shown]
	ds_read_u16 v22, v45
	ds_read_u16 v106, v44 offset:2496
	ds_read_u16 v107, v44 offset:2392
	ds_read_u16 v108, v44
	s_waitcnt vmcnt(0) lgkmcnt(0)
	s_barrier
	buffer_gl0_inv
	v_mul_f16_sdwa v110, v73, v0 dst_sel:DWORD dst_unused:UNUSED_PAD src0_sel:DWORD src1_sel:WORD_1
	v_mul_f16_sdwa v109, v87, v0 dst_sel:DWORD dst_unused:UNUSED_PAD src0_sel:DWORD src1_sel:WORD_1
	v_mul_f16_sdwa v111, v86, v1 dst_sel:DWORD dst_unused:UNUSED_PAD src0_sel:DWORD src1_sel:WORD_1
	v_mul_f16_sdwa v112, v19, v1 dst_sel:DWORD dst_unused:UNUSED_PAD src0_sel:DWORD src1_sel:WORD_1
	v_mul_f16_sdwa v113, v78, v2 dst_sel:DWORD dst_unused:UNUSED_PAD src0_sel:DWORD src1_sel:WORD_1
	v_mul_f16_sdwa v114, v23, v2 dst_sel:DWORD dst_unused:UNUSED_PAD src0_sel:DWORD src1_sel:WORD_1
	v_mul_f16_sdwa v119, v92, v2 dst_sel:DWORD dst_unused:UNUSED_PAD src0_sel:DWORD src1_sel:WORD_1
	v_mul_f16_sdwa v20, v59, v2 dst_sel:DWORD dst_unused:UNUSED_PAD src0_sel:DWORD src1_sel:WORD_1
	v_mul_f16_sdwa v125, v94, v4 dst_sel:DWORD dst_unused:UNUSED_PAD src0_sel:DWORD src1_sel:WORD_1
	v_mul_f16_sdwa v135, v106, v11 dst_sel:DWORD dst_unused:UNUSED_PAD src0_sel:DWORD src1_sel:WORD_1
	v_fmac_f16_e32 v110, v87, v0
	v_mul_f16_sdwa v87, v80, v11 dst_sel:DWORD dst_unused:UNUSED_PAD src0_sel:DWORD src1_sel:WORD_1
	v_mul_f16_sdwa v115, v85, v3 dst_sel:DWORD dst_unused:UNUSED_PAD src0_sel:DWORD src1_sel:WORD_1
	;; [unrolled: 1-line block ×23, first 2 shown]
	v_fma_f16 v109, v73, v0, -v109
	v_fma_f16 v111, v19, v1, -v111
	v_mul_f16_sdwa v136, v101, v8 dst_sel:DWORD dst_unused:UNUSED_PAD src0_sel:DWORD src1_sel:WORD_1
	v_fmac_f16_e32 v112, v86, v1
	v_mul_f16_sdwa v19, v62, v8 dst_sel:DWORD dst_unused:UNUSED_PAD src0_sel:DWORD src1_sel:WORD_1
	v_fma_f16 v86, v23, v2, -v113
	v_mul_f16_sdwa v113, v99, v9 dst_sel:DWORD dst_unused:UNUSED_PAD src0_sel:DWORD src1_sel:WORD_1
	v_fmac_f16_e32 v114, v78, v2
	v_mul_f16_sdwa v137, v107, v10 dst_sel:DWORD dst_unused:UNUSED_PAD src0_sel:DWORD src1_sel:WORD_1
	v_mul_f16_sdwa v73, v79, v10 dst_sel:DWORD dst_unused:UNUSED_PAD src0_sel:DWORD src1_sel:WORD_1
	v_fma_f16 v59, v59, v2, -v119
	v_fmac_f16_e32 v20, v92, v2
	v_fma_f16 v2, v66, v4, -v125
	v_fma_f16 v66, v80, v11, -v135
	v_fmac_f16_e32 v87, v106, v11
	v_mul_f16_sdwa v18, v71, v3 dst_sel:DWORD dst_unused:UNUSED_PAD src0_sel:DWORD src1_sel:WORD_1
	v_mul_f16_sdwa v124, v103, v7 dst_sel:DWORD dst_unused:UNUSED_PAD src0_sel:DWORD src1_sel:WORD_1
	;; [unrolled: 1-line block ×8, first 2 shown]
	v_fma_f16 v115, v21, v3, -v115
	v_fmac_f16_e32 v116, v85, v3
	v_fma_f16 v78, v77, v0, -v117
	v_mul_f16_sdwa v85, v105, v11 dst_sel:DWORD dst_unused:UNUSED_PAD src0_sel:DWORD src1_sel:WORD_1
	v_fmac_f16_e32 v72, v90, v0
	v_mul_f16_sdwa v77, v74, v11 dst_sel:DWORD dst_unused:UNUSED_PAD src0_sel:DWORD src1_sel:WORD_1
	v_fma_f16 v76, v76, v1, -v118
	v_fmac_f16_e32 v54, v91, v1
	v_fma_f16 v21, v71, v3, -v120
	v_fma_f16 v71, v60, v4, -v121
	v_fmac_f16_e32 v83, v88, v4
	v_fma_f16 v58, v58, v5, -v122
	v_fmac_f16_e32 v81, v89, v5
	;; [unrolled: 2-line block ×3, first 2 shown]
	v_fmac_f16_e32 v16, v94, v4
	v_fma_f16 v0, v67, v5, -v126
	v_fmac_f16_e32 v14, v95, v5
	v_fma_f16 v1, v70, v6, -v127
	v_fmac_f16_e32 v15, v104, v6
	v_fma_f16 v65, v65, v8, -v129
	v_fmac_f16_e32 v130, v102, v8
	v_fma_f16 v63, v63, v10, -v133
	v_fmac_f16_e32 v134, v98, v10
	v_fma_f16 v4, v62, v8, -v136
	v_fmac_f16_e32 v19, v101, v8
	v_fma_f16 v5, v61, v9, -v113
	v_fma_f16 v6, v79, v10, -v137
	v_fmac_f16_e32 v73, v107, v10
	v_sub_f16_e32 v8, v110, v87
	v_sub_f16_e32 v10, v109, v66
	v_add_f16_e32 v61, v57, v109
	v_add_f16_e32 v62, v108, v110
	v_fmac_f16_e32 v18, v93, v3
	v_fma_f16 v69, v75, v7, -v124
	v_fmac_f16_e32 v84, v103, v7
	v_fma_f16 v3, v68, v7, -v128
	;; [unrolled: 2-line block ×3, first 2 shown]
	v_fmac_f16_e32 v132, v100, v9
	v_fmac_f16_e32 v23, v99, v9
	v_fma_f16 v7, v74, v11, -v85
	v_fmac_f16_e32 v77, v105, v11
	v_add_f16_e32 v9, v109, v66
	v_add_f16_e32 v11, v110, v87
	v_mul_f16_e32 v75, 0xb770, v8
	v_mul_f16_e32 v79, 0xba95, v8
	v_mul_f16_e32 v80, 0xbbf1, v8
	v_mul_f16_e32 v85, 0xbb7b, v8
	v_mul_f16_e32 v88, 0xb94e, v8
	v_mul_f16_e32 v8, 0xb3a8, v8
	v_mul_f16_e32 v89, 0xb770, v10
	v_mul_f16_e32 v90, 0xba95, v10
	v_mul_f16_e32 v91, 0xbbf1, v10
	v_mul_f16_e32 v92, 0xbb7b, v10
	v_mul_f16_e32 v93, 0xb94e, v10
	v_mul_f16_e32 v10, 0xb3a8, v10
	v_add_f16_e32 v61, v61, v111
	v_add_f16_e32 v62, v62, v112
	v_fma_f16 v96, v9, 0x3b15, -v75
	v_fmac_f16_e32 v75, 0x3b15, v9
	v_fma_f16 v97, v9, 0x388b, -v79
	v_fmac_f16_e32 v79, 0x388b, v9
	;; [unrolled: 2-line block ×6, first 2 shown]
	v_fmamk_f16 v9, v11, 0x3b15, v89
	v_fma_f16 v89, v11, 0x3b15, -v89
	v_fmamk_f16 v102, v11, 0x388b, v90
	v_fma_f16 v90, v11, 0x388b, -v90
	;; [unrolled: 2-line block ×6, first 2 shown]
	v_add_f16_e32 v11, v61, v86
	v_add_f16_e32 v61, v62, v114
	;; [unrolled: 1-line block ×20, first 2 shown]
	v_sub_f16_e32 v67, v112, v134
	v_sub_f16_e32 v70, v111, v63
	v_add_f16_e32 v11, v11, v60
	v_add_f16_e32 v68, v111, v63
	;; [unrolled: 1-line block ×4, first 2 shown]
	v_mul_f16_e32 v94, 0xba95, v67
	v_add_f16_e32 v11, v11, v69
	v_mul_f16_e32 v95, 0xba95, v70
	v_add_f16_e32 v8, v8, v84
	v_add_f16_e32 v9, v108, v9
	v_fma_f16 v62, v68, 0x388b, -v94
	v_add_f16_e32 v11, v11, v65
	v_fmamk_f16 v107, v74, 0x388b, v95
	v_add_f16_e32 v8, v8, v130
	v_fmac_f16_e32 v94, 0x388b, v68
	v_add_f16_e32 v62, v62, v96
	v_add_f16_e32 v11, v11, v64
	;; [unrolled: 1-line block ×4, first 2 shown]
	v_fma_f16 v95, v74, 0x388b, -v95
	v_add_f16_e32 v61, v108, v89
	v_add_f16_e32 v9, v11, v63
	;; [unrolled: 1-line block ×4, first 2 shown]
	v_mul_f16_e32 v75, 0xbb7b, v70
	v_add_f16_e32 v89, v108, v102
	v_add_f16_e32 v90, v108, v90
	v_mul_f16_e32 v11, 0xbb7b, v67
	v_add_f16_e32 v9, v9, v66
	v_add_f16_e32 v8, v8, v87
	v_mul_f16_e32 v66, 0xb3a8, v67
	v_fmamk_f16 v87, v74, 0xb5ac, v75
	v_fma_f16 v75, v74, 0xb5ac, -v75
	v_add_f16_e32 v61, v95, v61
	v_fma_f16 v94, v68, 0xb5ac, -v11
	v_fmac_f16_e32 v11, 0xb5ac, v68
	v_fma_f16 v95, v68, 0xbbc4, -v66
	v_add_f16_e32 v87, v87, v89
	v_mul_f16_e32 v89, 0xb3a8, v70
	v_add_f16_e32 v75, v75, v90
	v_mul_f16_e32 v90, 0x394e, v67
	v_add_f16_e32 v91, v108, v91
	v_add_f16_e32 v11, v11, v79
	;; [unrolled: 1-line block ×3, first 2 shown]
	v_fmamk_f16 v95, v74, 0xbbc4, v89
	v_fmac_f16_e32 v66, 0xbbc4, v68
	v_fma_f16 v89, v74, 0xbbc4, -v89
	v_fma_f16 v98, v68, 0xb9fd, -v90
	v_fmac_f16_e32 v90, 0xb9fd, v68
	v_add_f16_e32 v102, v108, v103
	v_add_f16_e32 v66, v66, v80
	;; [unrolled: 1-line block ×4, first 2 shown]
	v_mul_f16_e32 v98, 0x3bf1, v67
	v_add_f16_e32 v94, v94, v97
	v_mul_f16_e32 v97, 0x394e, v70
	v_mul_f16_e32 v99, 0x3bf1, v70
	v_add_f16_e32 v85, v90, v85
	v_fma_f16 v90, v68, 0x2fb7, -v98
	v_fmac_f16_e32 v98, 0x2fb7, v68
	v_mul_f16_e32 v67, 0x3770, v67
	v_mul_f16_e32 v70, 0x3770, v70
	v_add_f16_e32 v93, v108, v93
	v_add_f16_e32 v95, v95, v102
	v_fmamk_f16 v89, v74, 0xb9fd, v97
	v_fma_f16 v97, v74, 0xb9fd, -v97
	v_fmamk_f16 v102, v74, 0x2fb7, v99
	v_add_f16_e32 v90, v90, v100
	v_add_f16_e32 v88, v98, v88
	v_fma_f16 v98, v68, 0x3b15, -v67
	v_fmac_f16_e32 v67, 0x3b15, v68
	v_fma_f16 v68, v74, 0x2fb7, -v99
	v_sub_f16_e32 v99, v114, v132
	v_fmamk_f16 v100, v74, 0x3b15, v70
	v_fma_f16 v70, v74, 0x3b15, -v70
	v_add_f16_e32 v74, v86, v64
	v_sub_f16_e32 v64, v86, v64
	v_add_f16_e32 v103, v108, v104
	v_add_f16_e32 v92, v108, v92
	;; [unrolled: 1-line block ×4, first 2 shown]
	v_mul_f16_e32 v86, 0xbbf1, v99
	v_add_f16_e32 v68, v68, v93
	v_add_f16_e32 v93, v98, v101
	;; [unrolled: 1-line block ×3, first 2 shown]
	v_mul_f16_e32 v101, 0xbbf1, v64
	v_add_f16_e32 v92, v97, v92
	v_add_f16_e32 v97, v102, v104
	v_fma_f16 v102, v74, 0x2fb7, -v86
	v_add_f16_e32 v57, v67, v57
	v_add_f16_e32 v10, v70, v10
	v_fmamk_f16 v67, v98, 0x2fb7, v101
	v_mul_f16_e32 v70, 0xb3a8, v99
	v_fmac_f16_e32 v86, 0x2fb7, v74
	v_add_f16_e32 v62, v102, v62
	v_fma_f16 v101, v98, 0x2fb7, -v101
	v_add_f16_e32 v67, v67, v96
	v_mul_f16_e32 v96, 0xb3a8, v64
	v_fma_f16 v102, v74, 0xbbc4, -v70
	v_add_f16_e32 v63, v86, v63
	v_mul_f16_e32 v86, 0x3b7b, v99
	v_add_f16_e32 v61, v101, v61
	v_fmamk_f16 v101, v98, 0xbbc4, v96
	v_add_f16_e32 v94, v102, v94
	v_fmac_f16_e32 v70, 0xbbc4, v74
	v_fma_f16 v96, v98, 0xbbc4, -v96
	v_fma_f16 v102, v74, 0xb5ac, -v86
	v_add_f16_e32 v87, v101, v87
	v_mul_f16_e32 v101, 0x3b7b, v64
	v_add_f16_e32 v11, v70, v11
	v_add_f16_e32 v70, v96, v75
	;; [unrolled: 1-line block ×3, first 2 shown]
	v_fmac_f16_e32 v86, 0xb5ac, v74
	v_mul_f16_e32 v102, 0x3770, v64
	v_add_f16_e32 v89, v89, v103
	v_mul_f16_e32 v79, 0x3770, v99
	v_fmamk_f16 v96, v98, 0xb5ac, v101
	v_add_f16_e32 v66, v86, v66
	v_fmamk_f16 v86, v98, 0x3b15, v102
	v_fma_f16 v101, v98, 0xb5ac, -v101
	v_fma_f16 v103, v74, 0x3b15, -v79
	v_add_f16_e32 v95, v96, v95
	v_fmac_f16_e32 v79, 0x3b15, v74
	v_mul_f16_e32 v96, 0xba95, v99
	v_add_f16_e32 v86, v86, v89
	v_fma_f16 v89, v98, 0x3b15, -v102
	v_add_f16_e32 v80, v101, v80
	v_mul_f16_e32 v101, 0xba95, v64
	v_add_f16_e32 v79, v79, v85
	v_fma_f16 v85, v74, 0x388b, -v96
	v_fmac_f16_e32 v96, 0x388b, v74
	v_add_f16_e32 v89, v89, v92
	v_mul_f16_e32 v92, 0xb94e, v99
	v_mul_f16_e32 v64, 0xb94e, v64
	v_fmamk_f16 v102, v98, 0x388b, v101
	v_add_f16_e32 v88, v96, v88
	v_add_f16_e32 v85, v85, v90
	v_fma_f16 v96, v74, 0xb9fd, -v92
	v_fmac_f16_e32 v92, 0xb9fd, v74
	v_fma_f16 v74, v98, 0x388b, -v101
	v_fmamk_f16 v99, v98, 0xb9fd, v64
	v_fma_f16 v64, v98, 0xb9fd, -v64
	v_add_f16_e32 v98, v115, v65
	v_sub_f16_e32 v65, v115, v65
	v_add_f16_e32 v90, v102, v97
	v_sub_f16_e32 v97, v116, v130
	v_add_f16_e32 v68, v74, v68
	v_add_f16_e32 v74, v96, v93
	;; [unrolled: 1-line block ×3, first 2 shown]
	v_mul_f16_e32 v96, 0xbb7b, v65
	v_add_f16_e32 v105, v108, v106
	v_mul_f16_e32 v101, 0xbb7b, v97
	v_add_f16_e32 v10, v64, v10
	v_add_f16_e32 v57, v92, v57
	v_fmamk_f16 v64, v93, 0xb5ac, v96
	v_add_f16_e32 v100, v100, v105
	v_fma_f16 v102, v98, 0xb5ac, -v101
	v_mul_f16_e32 v92, 0x394e, v97
	v_fmac_f16_e32 v101, 0xb5ac, v98
	v_fma_f16 v96, v93, 0xb5ac, -v96
	v_add_f16_e32 v64, v64, v67
	v_mul_f16_e32 v67, 0x394e, v65
	v_add_f16_e32 v99, v99, v100
	v_fma_f16 v100, v98, 0xb9fd, -v92
	v_add_f16_e32 v63, v101, v63
	v_add_f16_e32 v61, v96, v61
	v_mul_f16_e32 v96, 0x3770, v97
	v_fmamk_f16 v101, v93, 0xb9fd, v67
	v_add_f16_e32 v94, v100, v94
	v_fmac_f16_e32 v92, 0xb9fd, v98
	v_fma_f16 v67, v93, 0xb9fd, -v67
	v_fma_f16 v100, v98, 0x3b15, -v96
	v_add_f16_e32 v87, v101, v87
	v_mul_f16_e32 v101, 0x3770, v65
	v_add_f16_e32 v11, v92, v11
	v_add_f16_e32 v67, v67, v70
	;; [unrolled: 1-line block ×3, first 2 shown]
	v_mul_f16_e32 v75, 0xbbf1, v97
	v_fmamk_f16 v92, v93, 0x3b15, v101
	v_fma_f16 v100, v93, 0x3b15, -v101
	v_mul_f16_e32 v101, 0xbbf1, v65
	v_fmac_f16_e32 v96, 0x3b15, v98
	v_add_f16_e32 v62, v102, v62
	v_add_f16_e32 v92, v92, v95
	v_fma_f16 v102, v98, 0x2fb7, -v75
	v_fmamk_f16 v95, v93, 0x2fb7, v101
	v_add_f16_e32 v66, v96, v66
	v_add_f16_e32 v80, v100, v80
	v_fmac_f16_e32 v75, 0x2fb7, v98
	v_mul_f16_e32 v96, 0x33a8, v97
	v_mul_f16_e32 v100, 0x33a8, v65
	v_add_f16_e32 v86, v95, v86
	v_fma_f16 v95, v93, 0x2fb7, -v101
	v_add_f16_e32 v75, v75, v79
	v_fma_f16 v79, v98, 0xbbc4, -v96
	v_fmamk_f16 v101, v93, 0xbbc4, v100
	v_fmac_f16_e32 v96, 0xbbc4, v98
	v_add_f16_e32 v89, v95, v89
	v_mul_f16_e32 v95, 0x3a95, v97
	v_mul_f16_e32 v65, 0x3a95, v65
	v_add_f16_e32 v79, v79, v85
	v_add_f16_e32 v85, v101, v90
	;; [unrolled: 1-line block ×3, first 2 shown]
	v_fma_f16 v90, v98, 0x388b, -v95
	v_fmac_f16_e32 v95, 0x388b, v98
	v_fma_f16 v96, v93, 0xbbc4, -v100
	v_sub_f16_e32 v97, v83, v84
	v_fmamk_f16 v98, v93, 0x388b, v65
	v_fma_f16 v65, v93, 0x388b, -v65
	v_add_f16_e32 v93, v71, v69
	v_sub_f16_e32 v69, v71, v69
	v_mul_f16_e32 v71, 0xb94e, v97
	v_add_f16_e32 v83, v83, v84
	v_add_f16_e32 v74, v90, v74
	;; [unrolled: 1-line block ×3, first 2 shown]
	v_mul_f16_e32 v84, 0xb94e, v69
	v_fma_f16 v90, v93, 0xb9fd, -v71
	v_fmac_f16_e32 v71, 0xb9fd, v93
	v_add_f16_e32 v57, v95, v57
	v_add_f16_e32 v91, v103, v91
	v_fmamk_f16 v65, v83, 0xb9fd, v84
	v_add_f16_e32 v62, v90, v62
	v_mul_f16_e32 v90, 0x3bf1, v97
	v_fma_f16 v84, v83, 0xb9fd, -v84
	v_add_f16_e32 v63, v71, v63
	v_add_f16_e32 v64, v65, v64
	v_mul_f16_e32 v65, 0x3bf1, v69
	v_fma_f16 v95, v93, 0x2fb7, -v90
	v_add_f16_e32 v61, v84, v61
	v_mul_f16_e32 v71, 0xba95, v97
	v_fmac_f16_e32 v90, 0x2fb7, v93
	v_fmamk_f16 v84, v83, 0x2fb7, v65
	v_add_f16_e32 v68, v96, v68
	v_add_f16_e32 v96, v98, v99
	;; [unrolled: 1-line block ×3, first 2 shown]
	v_fma_f16 v65, v83, 0x2fb7, -v65
	v_fma_f16 v95, v93, 0x388b, -v71
	v_add_f16_e32 v84, v84, v87
	v_mul_f16_e32 v87, 0xba95, v69
	v_add_f16_e32 v98, v90, v11
	v_mul_f16_e32 v11, 0x33a8, v97
	v_add_f16_e32 v91, v102, v91
	v_add_f16_e32 v65, v65, v67
	;; [unrolled: 1-line block ×3, first 2 shown]
	v_fmamk_f16 v70, v83, 0x388b, v87
	v_fmac_f16_e32 v71, 0x388b, v93
	v_fma_f16 v87, v83, 0x388b, -v87
	v_mul_f16_e32 v90, 0x33a8, v69
	v_fma_f16 v95, v93, 0xbbc4, -v11
	v_fmac_f16_e32 v11, 0xbbc4, v93
	v_add_f16_e32 v66, v71, v66
	v_add_f16_e32 v71, v87, v80
	v_fmamk_f16 v80, v83, 0xbbc4, v90
	v_add_f16_e32 v87, v95, v91
	v_mul_f16_e32 v91, 0x3770, v97
	v_add_f16_e32 v70, v70, v92
	v_mul_f16_e32 v92, 0x3770, v69
	v_add_f16_e32 v80, v80, v86
	v_fma_f16 v86, v83, 0xbbc4, -v90
	v_add_f16_e32 v75, v11, v75
	v_fma_f16 v11, v93, 0x3b15, -v91
	v_fmamk_f16 v90, v83, 0x3b15, v92
	v_fmac_f16_e32 v91, 0x3b15, v93
	v_add_f16_e32 v86, v86, v89
	v_mul_f16_e32 v89, 0xbb7b, v97
	v_add_f16_e32 v79, v11, v79
	v_mul_f16_e32 v11, 0xbb7b, v69
	v_sub_f16_e32 v95, v81, v82
	v_add_f16_e32 v85, v90, v85
	v_add_f16_e32 v88, v91, v88
	v_fma_f16 v69, v93, 0xb5ac, -v89
	v_fma_f16 v90, v83, 0x3b15, -v92
	v_fmamk_f16 v91, v83, 0xb5ac, v11
	v_fma_f16 v11, v83, 0xb5ac, -v11
	v_add_f16_e32 v83, v58, v60
	v_mul_f16_e32 v92, 0xb3a8, v95
	v_sub_f16_e32 v97, v58, v60
	v_fmac_f16_e32 v89, 0xb5ac, v93
	v_add_f16_e32 v69, v69, v74
	v_add_f16_e32 v74, v81, v82
	v_fma_f16 v58, v83, 0xbbc4, -v92
	v_mul_f16_e32 v60, 0xb3a8, v97
	v_add_f16_e32 v82, v89, v57
	v_add_f16_e32 v99, v11, v10
	v_fmac_f16_e32 v92, 0xbbc4, v83
	v_add_f16_e32 v57, v58, v62
	v_fmamk_f16 v10, v74, 0xbbc4, v60
	v_mul_f16_e32 v62, 0x3770, v95
	v_fma_f16 v60, v74, 0xbbc4, -v60
	v_mul_f16_e32 v89, 0x3770, v97
	v_add_f16_e32 v81, v91, v96
	v_add_f16_e32 v11, v10, v64
	v_fma_f16 v64, v83, 0x3b15, -v62
	v_add_f16_e32 v58, v92, v63
	v_add_f16_e32 v10, v60, v61
	v_fmamk_f16 v60, v74, 0x3b15, v89
	v_mul_f16_e32 v91, 0xb94e, v95
	v_fma_f16 v63, v74, 0x3b15, -v89
	v_add_f16_e32 v68, v90, v68
	v_add_f16_e32 v61, v64, v94
	v_fmac_f16_e32 v62, 0x3b15, v83
	v_add_f16_e32 v90, v60, v84
	v_fma_f16 v64, v83, 0xb9fd, -v91
	v_mul_f16_e32 v84, 0xb94e, v97
	v_add_f16_e32 v89, v63, v65
	v_mul_f16_e32 v65, 0x3a95, v95
	v_add_f16_e32 v60, v62, v98
	v_add_f16_e32 v63, v64, v67
	v_fmamk_f16 v62, v74, 0xb9fd, v84
	v_fmac_f16_e32 v91, 0xb9fd, v83
	v_fma_f16 v64, v74, 0xb9fd, -v84
	v_fma_f16 v67, v83, 0x388b, -v65
	v_mul_f16_e32 v84, 0x3a95, v97
	v_add_f16_e32 v92, v62, v70
	v_add_f16_e32 v62, v91, v66
	;; [unrolled: 1-line block ×4, first 2 shown]
	v_fmamk_f16 v66, v74, 0x388b, v84
	v_fmac_f16_e32 v65, 0x388b, v83
	v_mul_f16_e32 v67, 0xbb7b, v95
	v_mul_f16_e32 v70, 0xbb7b, v97
	v_fma_f16 v71, v74, 0x388b, -v84
	v_add_f16_e32 v94, v66, v80
	v_add_f16_e32 v65, v65, v75
	v_fma_f16 v66, v83, 0xb5ac, -v67
	v_fmamk_f16 v75, v74, 0xb5ac, v70
	v_add_f16_e32 v93, v71, v86
	v_mul_f16_e32 v71, 0x3bf1, v95
	v_fmac_f16_e32 v67, 0xb5ac, v83
	v_add_f16_e32 v66, v66, v79
	v_add_f16_e32 v95, v75, v85
	v_mul_f16_e32 v75, 0x3bf1, v97
	v_fma_f16 v79, v83, 0x2fb7, -v71
	v_fma_f16 v70, v74, 0xb5ac, -v70
	v_fmac_f16_e32 v71, 0x2fb7, v83
	v_sub_f16_e32 v83, v72, v77
	v_fmamk_f16 v80, v74, 0x2fb7, v75
	v_fma_f16 v74, v74, 0x2fb7, -v75
	v_add_f16_e32 v96, v70, v68
	v_add_f16_e32 v70, v78, v7
	v_mul_f16_e32 v75, 0xb770, v83
	v_add_f16_e32 v68, v79, v69
	v_add_f16_e32 v97, v80, v81
	;; [unrolled: 1-line block ×3, first 2 shown]
	v_mul_f16_e32 v71, 0xba95, v83
	v_add_f16_e32 v98, v74, v99
	v_fma_f16 v74, v70, 0x3b15, -v75
	v_mul_f16_e32 v79, 0xbbf1, v83
	v_mul_f16_e32 v81, 0xbb7b, v83
	;; [unrolled: 1-line block ×4, first 2 shown]
	v_sub_f16_e32 v86, v54, v73
	v_add_f16_e32 v67, v67, v88
	v_fmac_f16_e32 v75, 0x3b15, v70
	v_fma_f16 v80, v70, 0x388b, -v71
	v_fmac_f16_e32 v71, 0x388b, v70
	v_fma_f16 v82, v70, 0x2fb7, -v79
	;; [unrolled: 2-line block ×4, first 2 shown]
	v_fmac_f16_e32 v84, 0xb9fd, v70
	v_add_f16_e32 v88, v76, v6
	v_mul_f16_e32 v99, 0xba95, v86
	v_fma_f16 v100, v70, 0xbbc4, -v83
	v_fmac_f16_e32 v83, 0xbbc4, v70
	v_add_f16_e32 v70, v12, v74
	v_mul_f16_e32 v74, 0xbb7b, v86
	v_fma_f16 v101, v88, 0x388b, -v99
	v_add_f16_e32 v75, v12, v75
	v_fmac_f16_e32 v99, 0x388b, v88
	v_add_f16_e32 v80, v12, v80
	v_fma_f16 v102, v88, 0xb5ac, -v74
	v_add_f16_e32 v71, v12, v71
	v_fmac_f16_e32 v74, 0xb5ac, v88
	v_add_f16_e32 v70, v101, v70
	v_mul_f16_e32 v101, 0xb3a8, v86
	v_add_f16_e32 v75, v99, v75
	v_add_f16_e32 v80, v102, v80
	v_mul_f16_e32 v99, 0x394e, v86
	v_mul_f16_e32 v102, 0x3bf1, v86
	v_add_f16_e32 v71, v74, v71
	v_add_f16_e32 v74, v12, v82
	v_fma_f16 v82, v88, 0xbbc4, -v101
	v_add_f16_e32 v85, v12, v85
	v_fma_f16 v103, v88, 0xb9fd, -v99
	;; [unrolled: 2-line block ×3, first 2 shown]
	v_add_f16_e32 v79, v12, v79
	v_fmac_f16_e32 v101, 0xbbc4, v88
	v_add_f16_e32 v81, v12, v81
	v_fmac_f16_e32 v99, 0xb9fd, v88
	v_add_f16_e32 v74, v82, v74
	v_add_f16_e32 v82, v103, v85
	;; [unrolled: 1-line block ×3, first 2 shown]
	v_sub_f16_e32 v87, v20, v23
	v_add_f16_e32 v79, v101, v79
	v_add_f16_e32 v81, v99, v81
	;; [unrolled: 1-line block ×3, first 2 shown]
	v_mul_f16_e32 v86, 0x3770, v86
	v_fmac_f16_e32 v102, 0x2fb7, v88
	v_add_f16_e32 v99, v12, v100
	v_add_f16_e32 v100, v59, v5
	v_mul_f16_e32 v101, 0xbbf1, v87
	v_fma_f16 v103, v88, 0x3b15, -v86
	v_add_f16_e32 v84, v102, v84
	v_fmac_f16_e32 v86, 0x3b15, v88
	v_add_f16_e32 v83, v12, v83
	v_fma_f16 v88, v100, 0x2fb7, -v101
	v_fmac_f16_e32 v101, 0x2fb7, v100
	v_mul_f16_e32 v102, 0xb3a8, v87
	v_add_f16_e32 v99, v103, v99
	v_add_f16_e32 v83, v86, v83
	;; [unrolled: 1-line block ×3, first 2 shown]
	v_mul_f16_e32 v86, 0x3b7b, v87
	v_add_f16_e32 v75, v101, v75
	v_fma_f16 v88, v100, 0xbbc4, -v102
	v_mul_f16_e32 v101, 0x3770, v87
	v_fmac_f16_e32 v102, 0xbbc4, v100
	v_fma_f16 v103, v100, 0xb5ac, -v86
	v_fmac_f16_e32 v86, 0xb5ac, v100
	v_add_f16_e32 v80, v88, v80
	v_fma_f16 v88, v100, 0x3b15, -v101
	v_add_f16_e32 v71, v102, v71
	v_add_f16_e32 v104, v21, v4
	v_add_f16_e32 v79, v86, v79
	v_mul_f16_e32 v86, 0xba95, v87
	v_add_f16_e32 v82, v88, v82
	v_sub_f16_e32 v88, v18, v19
	v_mul_f16_e32 v87, 0xb94e, v87
	v_add_f16_e32 v74, v103, v74
	v_fma_f16 v102, v100, 0x388b, -v86
	v_fmac_f16_e32 v86, 0x388b, v100
	v_mul_f16_e32 v105, 0xbb7b, v88
	v_fmac_f16_e32 v101, 0x3b15, v100
	v_fma_f16 v103, v100, 0xb9fd, -v87
	v_fmac_f16_e32 v87, 0xb9fd, v100
	v_add_f16_e32 v84, v86, v84
	v_fma_f16 v86, v104, 0xb5ac, -v105
	v_mul_f16_e32 v100, 0x394e, v88
	v_add_f16_e32 v81, v101, v81
	v_add_f16_e32 v83, v87, v83
	v_mul_f16_e32 v101, 0xbbf1, v88
	v_add_f16_e32 v70, v86, v70
	v_mul_f16_e32 v86, 0x3770, v88
	v_fma_f16 v87, v104, 0xb9fd, -v100
	v_add_f16_e32 v85, v102, v85
	v_fmac_f16_e32 v105, 0xb5ac, v104
	v_fmac_f16_e32 v100, 0xb9fd, v104
	v_fma_f16 v102, v104, 0x3b15, -v86
	v_fmac_f16_e32 v86, 0x3b15, v104
	v_add_f16_e32 v80, v87, v80
	v_fma_f16 v87, v104, 0x2fb7, -v101
	v_add_f16_e32 v99, v103, v99
	v_add_f16_e32 v75, v105, v75
	;; [unrolled: 1-line block ×3, first 2 shown]
	v_mul_f16_e32 v86, 0x33a8, v88
	v_add_f16_e32 v82, v87, v82
	v_mul_f16_e32 v87, 0x3a95, v88
	v_sub_f16_e32 v88, v16, v17
	v_add_f16_e32 v71, v100, v71
	v_fma_f16 v100, v104, 0xbbc4, -v86
	v_fmac_f16_e32 v86, 0xbbc4, v104
	v_add_f16_e32 v103, v2, v3
	v_mul_f16_e32 v105, 0xb94e, v88
	v_add_f16_e32 v74, v102, v74
	v_fmac_f16_e32 v101, 0x2fb7, v104
	v_add_f16_e32 v84, v86, v84
	v_fma_f16 v102, v104, 0x388b, -v87
	v_fma_f16 v86, v103, 0xb9fd, -v105
	v_fmac_f16_e32 v87, 0x388b, v104
	v_add_f16_e32 v85, v100, v85
	v_mul_f16_e32 v100, 0x3bf1, v88
	v_add_f16_e32 v81, v101, v81
	v_add_f16_e32 v70, v86, v70
	v_mul_f16_e32 v86, 0xba95, v88
	v_add_f16_e32 v99, v102, v99
	v_add_f16_e32 v83, v87, v83
	v_fma_f16 v87, v103, 0x2fb7, -v100
	v_mul_f16_e32 v101, 0x33a8, v88
	v_fmac_f16_e32 v100, 0x2fb7, v103
	v_fma_f16 v102, v103, 0x388b, -v86
	v_fmac_f16_e32 v86, 0x388b, v103
	v_add_f16_e32 v80, v87, v80
	v_fma_f16 v87, v103, 0xbbc4, -v101
	v_add_f16_e32 v71, v100, v71
	v_mul_f16_e32 v100, 0x3770, v88
	v_add_f16_e32 v79, v86, v79
	v_mul_f16_e32 v86, 0xbb7b, v88
	v_fmac_f16_e32 v101, 0xbbc4, v103
	v_sub_f16_e32 v88, v14, v15
	v_add_f16_e32 v12, v12, v78
	v_fmac_f16_e32 v105, 0xb9fd, v103
	v_add_f16_e32 v74, v102, v74
	v_add_f16_e32 v82, v87, v82
	v_fma_f16 v87, v103, 0x3b15, -v100
	v_fmac_f16_e32 v100, 0x3b15, v103
	v_fma_f16 v102, v103, 0xb5ac, -v86
	v_fmac_f16_e32 v86, 0xb5ac, v103
	v_add_f16_e32 v81, v101, v81
	v_add_f16_e32 v101, v0, v1
	v_mul_f16_e32 v103, 0xb3a8, v88
	v_add_f16_e32 v12, v12, v76
	v_add_f16_e32 v84, v100, v84
	;; [unrolled: 1-line block ×3, first 2 shown]
	v_mul_f16_e32 v87, 0x3770, v88
	v_fma_f16 v100, v101, 0xbbc4, -v103
	v_add_f16_e32 v12, v12, v59
	v_add_f16_e32 v99, v102, v99
	;; [unrolled: 1-line block ×3, first 2 shown]
	v_fma_f16 v86, v101, 0x3b15, -v87
	v_add_f16_e32 v70, v100, v70
	v_mul_f16_e32 v100, 0xb94e, v88
	v_add_f16_e32 v12, v12, v21
	v_add_f16_e32 v75, v105, v75
	v_fmac_f16_e32 v103, 0xbbc4, v101
	v_add_f16_e32 v80, v86, v80
	v_fma_f16 v102, v101, 0xb9fd, -v100
	v_fmac_f16_e32 v100, 0xb9fd, v101
	v_add_f16_e32 v12, v12, v2
	v_mul_f16_e32 v86, 0x3a95, v88
	v_fmac_f16_e32 v87, 0x3b15, v101
	v_add_f16_e32 v75, v103, v75
	v_add_f16_e32 v79, v100, v79
	v_lshrrev_b32_e32 v100, 1, v26
	v_add_f16_e32 v12, v12, v0
	v_fma_f16 v103, v101, 0x388b, -v86
	v_add_f16_e32 v71, v87, v71
	v_mul_f16_e32 v87, 0xbb7b, v88
	v_mul_f16_e32 v88, 0x3bf1, v88
	v_fmac_f16_e32 v86, 0x388b, v101
	v_mul_u32_u24_e32 v100, 26, v100
	v_add_f16_e32 v12, v12, v1
	v_add_f16_e32 v74, v102, v74
	;; [unrolled: 1-line block ×3, first 2 shown]
	v_fma_f16 v102, v101, 0xb5ac, -v87
	v_fmac_f16_e32 v87, 0xb5ac, v101
	v_fma_f16 v103, v101, 0x2fb7, -v88
	v_add_f16_e32 v81, v86, v81
	v_or_b32_e32 v86, v100, v13
	v_add_f16_e32 v12, v12, v3
	v_add_f16_e32 v84, v87, v84
	v_add_f16_e32 v87, v103, v99
	v_fmac_f16_e32 v88, 0x2fb7, v101
	v_lshl_add_u32 v99, v86, 1, 0
	v_lshrrev_b32_e32 v86, 1, v38
	v_add_f16_e32 v12, v12, v4
	v_add_f16_e32 v85, v102, v85
	;; [unrolled: 1-line block ×3, first 2 shown]
	ds_write_b16 v99, v9
	v_mul_lo_u32 v9, v86, 26
	v_add_f16_e32 v12, v12, v5
	ds_write_b16 v99, v57 offset:4
	ds_write_b16 v99, v61 offset:8
	;; [unrolled: 1-line block ×8, first 2 shown]
	v_sub_f16_e32 v5, v59, v5
	v_add_f16_e32 v12, v12, v6
	v_sub_f16_e32 v6, v76, v6
	v_or_b32_e32 v9, v9, v13
	v_sub_f16_e32 v4, v21, v4
	v_sub_f16_e32 v2, v2, v3
	v_add_f16_e32 v12, v12, v7
	v_sub_f16_e32 v7, v78, v7
	v_lshl_add_u32 v9, v9, 1, 0
	ds_write_b16 v99, v65 offset:36
	ds_write_b16 v99, v62 offset:40
	;; [unrolled: 1-line block ×4, first 2 shown]
	ds_write_b16 v9, v12
	ds_write_b16 v9, v70 offset:4
	ds_write_b16 v9, v80 offset:8
	;; [unrolled: 1-line block ×3, first 2 shown]
	v_add_f16_e32 v12, v22, v72
	ds_write_b16 v9, v82 offset:16
	ds_write_b16 v9, v85 offset:20
	;; [unrolled: 1-line block ×8, first 2 shown]
	v_add_f16_e32 v12, v12, v54
	ds_write_b16 v9, v75 offset:48
	s_waitcnt lgkmcnt(0)
	s_barrier
	buffer_gl0_inv
	v_add_f16_e32 v12, v12, v20
	ds_read_u16 v86, v55
	ds_read_u16 v84, v56
	;; [unrolled: 1-line block ×5, first 2 shown]
	ds_read_u16 v71, v44 offset:312
	ds_read_u16 v70, v44 offset:520
	;; [unrolled: 1-line block ×15, first 2 shown]
	ds_read_u16 v87, v51
	ds_read_u16 v88, v50
	;; [unrolled: 1-line block ×3, first 2 shown]
	ds_read_u16 v62, v44 offset:2600
	ds_read_u16 v75, v44 offset:2496
	;; [unrolled: 1-line block ×3, first 2 shown]
	v_add_f16_e32 v12, v12, v18
	s_waitcnt lgkmcnt(0)
	s_barrier
	buffer_gl0_inv
	ds_write_b16 v99, v8
	ds_write_b16 v99, v11 offset:4
	ds_write_b16 v99, v90 offset:8
	;; [unrolled: 1-line block ×3, first 2 shown]
	v_add_f16_e32 v12, v12, v16
	ds_write_b16 v99, v94 offset:16
	ds_write_b16 v99, v95 offset:20
	;; [unrolled: 1-line block ×7, first 2 shown]
	v_add_f16_e32 v11, v72, v77
	v_add_f16_e32 v12, v12, v14
	ds_write_b16 v99, v89 offset:44
	ds_write_b16 v99, v10 offset:48
	v_mul_f16_e32 v10, 0xba95, v7
	v_mul_f16_e32 v72, 0xbbf1, v7
	v_mul_f16_e32 v78, 0xbb7b, v7
	v_add_f16_e32 v12, v12, v15
	v_mul_f16_e32 v90, 0xb94e, v7
	v_add_f16_e32 v54, v54, v73
	v_fmamk_f16 v89, v11, 0x2fb7, v72
	v_fmamk_f16 v91, v11, 0xb5ac, v78
	v_add_f16_e32 v12, v12, v17
	v_fmamk_f16 v92, v11, 0xb9fd, v90
	v_fma_f16 v72, v11, 0x2fb7, -v72
	v_fma_f16 v78, v11, 0xb5ac, -v78
	;; [unrolled: 1-line block ×3, first 2 shown]
	v_add_f16_e32 v8, v12, v19
	v_mul_f16_e32 v12, 0xb770, v7
	v_mul_f16_e32 v7, 0xb3a8, v7
	v_add_f16_e32 v76, v22, v89
	v_add_f16_e32 v89, v22, v92
	;; [unrolled: 1-line block ×3, first 2 shown]
	v_fmamk_f16 v13, v11, 0x3b15, v12
	v_fma_f16 v12, v11, 0x3b15, -v12
	v_fmamk_f16 v93, v11, 0xbbc4, v7
	v_fma_f16 v7, v11, 0xbbc4, -v7
	v_add_f16_e32 v8, v8, v73
	v_mul_f16_e32 v73, 0xba95, v6
	v_mul_f16_e32 v92, 0xbb7b, v6
	v_add_f16_e32 v12, v22, v12
	v_add_f16_e32 v72, v22, v72
	;; [unrolled: 1-line block ×3, first 2 shown]
	v_fmamk_f16 v77, v11, 0x388b, v10
	v_fma_f16 v10, v11, 0x388b, -v10
	v_add_f16_e32 v11, v22, v13
	v_add_f16_e32 v78, v22, v78
	;; [unrolled: 1-line block ×5, first 2 shown]
	v_fmamk_f16 v91, v54, 0x388b, v73
	v_add_f16_e32 v10, v22, v10
	v_add_f16_e32 v93, v22, v93
	;; [unrolled: 1-line block ×3, first 2 shown]
	v_fmamk_f16 v22, v54, 0xb5ac, v92
	v_add_f16_e32 v11, v91, v11
	v_mul_f16_e32 v91, 0xb3a8, v6
	v_fma_f16 v73, v54, 0x388b, -v73
	v_add_f16_e32 v20, v20, v23
	v_add_f16_e32 v13, v22, v13
	v_mul_f16_e32 v23, 0xbbf1, v5
	v_fmamk_f16 v22, v54, 0xbbc4, v91
	v_add_f16_e32 v12, v73, v12
	v_fma_f16 v73, v54, 0xb5ac, -v92
	v_mul_f16_e32 v92, 0x394e, v6
	v_fma_f16 v91, v54, 0xbbc4, -v91
	v_add_f16_e32 v22, v22, v76
	v_mul_f16_e32 v76, 0x3bf1, v6
	v_add_f16_e32 v10, v73, v10
	v_fmamk_f16 v73, v54, 0xb9fd, v92
	v_fma_f16 v92, v54, 0xb9fd, -v92
	v_mul_f16_e32 v6, 0x3770, v6
	v_fmamk_f16 v59, v54, 0x2fb7, v76
	v_fma_f16 v76, v54, 0x2fb7, -v76
	v_add_f16_e32 v73, v73, v77
	v_add_f16_e32 v77, v92, v78
	v_fmamk_f16 v78, v54, 0x3b15, v6
	v_fma_f16 v6, v54, 0x3b15, -v6
	v_add_f16_e32 v54, v59, v89
	v_add_f16_e32 v59, v76, v90
	v_fmamk_f16 v76, v20, 0x2fb7, v23
	v_mul_f16_e32 v89, 0xb3a8, v5
	v_add_f16_e32 v6, v6, v7
	v_add_f16_e32 v72, v91, v72
	v_fma_f16 v23, v20, 0x2fb7, -v23
	v_add_f16_e32 v7, v76, v11
	v_fmamk_f16 v11, v20, 0xbbc4, v89
	v_mul_f16_e32 v76, 0x3b7b, v5
	v_add_f16_e32 v18, v18, v19
	v_add_f16_e32 v12, v23, v12
	v_fma_f16 v23, v20, 0xbbc4, -v89
	v_add_f16_e32 v11, v11, v13
	v_fmamk_f16 v13, v20, 0xb5ac, v76
	v_fma_f16 v76, v20, 0xb5ac, -v76
	v_mul_f16_e32 v89, 0x3770, v5
	v_mul_f16_e32 v19, 0xbb7b, v4
	v_add_f16_e32 v10, v23, v10
	v_add_f16_e32 v13, v13, v22
	;; [unrolled: 1-line block ×3, first 2 shown]
	v_mul_f16_e32 v72, 0xba95, v5
	v_mul_f16_e32 v5, 0xb94e, v5
	v_fmamk_f16 v23, v20, 0x3b15, v89
	v_fma_f16 v89, v20, 0x3b15, -v89
	v_mul_f16_e32 v3, 0x3a95, v4
	v_fmamk_f16 v21, v20, 0x388b, v72
	v_fma_f16 v72, v20, 0x388b, -v72
	v_fmamk_f16 v76, v20, 0xb9fd, v5
	v_fma_f16 v5, v20, 0xb9fd, -v5
	v_add_f16_e32 v16, v16, v17
	v_add_f16_e32 v20, v21, v54
	;; [unrolled: 1-line block ×3, first 2 shown]
	v_fmamk_f16 v54, v18, 0xb5ac, v19
	v_mul_f16_e32 v59, 0x394e, v4
	v_add_f16_e32 v5, v5, v6
	v_fma_f16 v19, v18, 0xb5ac, -v19
	v_mul_f16_e32 v17, 0xb94e, v2
	v_add_f16_e32 v6, v54, v7
	v_fmamk_f16 v7, v18, 0xb9fd, v59
	v_mul_f16_e32 v54, 0x3770, v4
	v_add_f16_e32 v12, v19, v12
	v_fma_f16 v19, v18, 0xb9fd, -v59
	v_mul_f16_e32 v59, 0xbbf1, v4
	v_add_f16_e32 v7, v7, v11
	v_fmamk_f16 v11, v18, 0x3b15, v54
	v_fma_f16 v54, v18, 0x3b15, -v54
	v_add_f16_e32 v10, v19, v10
	v_fmamk_f16 v19, v18, 0x2fb7, v59
	v_fma_f16 v59, v18, 0x2fb7, -v59
	v_add_f16_e32 v11, v11, v13
	v_add_f16_e32 v13, v54, v22
	v_mul_f16_e32 v22, 0x33a8, v4
	v_fmamk_f16 v54, v18, 0x388b, v3
	v_fma_f16 v3, v18, 0x388b, -v3
	v_sub_f16_e32 v0, v0, v1
	v_add_f16_e32 v78, v78, v93
	v_fmamk_f16 v4, v18, 0xbbc4, v22
	v_fma_f16 v22, v18, 0xbbc4, -v22
	v_add_f16_e32 v3, v3, v5
	v_mul_f16_e32 v1, 0xbb7b, v2
	v_add_f16_e32 v14, v14, v15
	v_add_f16_e32 v4, v4, v20
	;; [unrolled: 1-line block ×3, first 2 shown]
	v_fmamk_f16 v20, v16, 0xb9fd, v17
	v_mul_f16_e32 v21, 0x3bf1, v2
	v_fma_f16 v17, v16, 0xb9fd, -v17
	v_mul_f16_e32 v15, 0xb3a8, v0
	v_add_f16_e32 v23, v23, v73
	v_add_f16_e32 v5, v20, v6
	v_fmamk_f16 v6, v16, 0x2fb7, v21
	v_mul_f16_e32 v20, 0xba95, v2
	v_add_f16_e32 v12, v17, v12
	v_fma_f16 v17, v16, 0x2fb7, -v21
	v_mul_f16_e32 v21, 0x33a8, v2
	v_add_f16_e32 v6, v6, v7
	v_fmamk_f16 v7, v16, 0x388b, v20
	v_fma_f16 v20, v16, 0x388b, -v20
	v_add_f16_e32 v72, v76, v78
	v_add_f16_e32 v19, v19, v23
	v_add_f16_e32 v10, v17, v10
	v_add_f16_e32 v7, v7, v11
	v_add_f16_e32 v11, v20, v13
	v_mul_f16_e32 v13, 0x3770, v2
	v_fmamk_f16 v20, v16, 0xb5ac, v1
	v_fma_f16 v1, v16, 0xb5ac, -v1
	v_add_f16_e32 v22, v54, v72
	v_fmamk_f16 v17, v16, 0xbbc4, v21
	v_fmamk_f16 v2, v16, 0x3b15, v13
	v_fma_f16 v13, v16, 0x3b15, -v13
	v_add_f16_e32 v1, v1, v3
	v_add_f16_e32 v73, v89, v77
	v_fma_f16 v21, v16, 0xbbc4, -v21
	v_add_f16_e32 v2, v2, v4
	v_add_f16_e32 v4, v13, v18
	v_fmamk_f16 v13, v14, 0xbbc4, v15
	v_mul_f16_e32 v18, 0x3770, v0
	v_fma_f16 v15, v14, 0xbbc4, -v15
	v_add_f16_e32 v17, v17, v19
	v_add_f16_e32 v16, v20, v22
	v_add_f16_e32 v3, v13, v5
	v_mul_f16_e32 v5, 0xb94e, v0
	v_fmamk_f16 v13, v14, 0x3b15, v18
	v_add_f16_e32 v12, v15, v12
	v_fma_f16 v15, v14, 0x3b15, -v18
	v_mul_f16_e32 v18, 0x3a95, v0
	v_fmamk_f16 v20, v14, 0xb9fd, v5
	v_add_f16_e32 v6, v13, v6
	v_fma_f16 v5, v14, 0xb9fd, -v5
	v_add_f16_e32 v10, v15, v10
	v_fmamk_f16 v13, v14, 0x388b, v18
	v_mul_f16_e32 v15, 0xbb7b, v0
	v_mul_f16_e32 v0, 0x3bf1, v0
	v_subrev_nc_u32_e32 v54, 26, v26
	v_add_f16_e32 v23, v59, v73
	v_add_f16_e32 v5, v5, v11
	;; [unrolled: 1-line block ×3, first 2 shown]
	v_fma_f16 v13, v14, 0x388b, -v18
	v_fmamk_f16 v17, v14, 0xb5ac, v15
	v_fma_f16 v15, v14, 0xb5ac, -v15
	v_fmamk_f16 v18, v14, 0x2fb7, v0
	v_fma_f16 v0, v14, 0x2fb7, -v0
	v_cndmask_b32_e64 v59, v54, v26, s0
	v_add_f16_e32 v19, v21, v23
	v_add_f16_e32 v4, v15, v4
	;; [unrolled: 1-line block ×4, first 2 shown]
	v_mul_i32_i24_e32 v0, 12, v59
	v_mov_b32_e32 v1, 0
	v_add_f16_e32 v13, v13, v19
	v_add_f16_e32 v14, v18, v16
	;; [unrolled: 1-line block ×3, first 2 shown]
	ds_write_b16 v9, v8
	ds_write_b16 v9, v3 offset:4
	ds_write_b16 v9, v6 offset:8
	;; [unrolled: 1-line block ×3, first 2 shown]
	v_lshlrev_b64 v[0:1], 2, v[0:1]
	ds_write_b16 v9, v11 offset:16
	ds_write_b16 v9, v2 offset:20
	;; [unrolled: 1-line block ×9, first 2 shown]
	s_waitcnt lgkmcnt(0)
	s_barrier
	v_add_co_u32 v0, s1, s8, v0
	v_add_co_ci_u32_e64 v1, s1, s9, v1, s1
	buffer_gl0_inv
	s_clause 0x1
	global_load_dwordx4 v[8:11], v[0:1], off offset:96
	global_load_dwordx4 v[20:23], v[0:1], off offset:112
	v_and_b32_e32 v2, 0xff, v38
	global_load_dwordx4 v[4:7], v[0:1], off offset:128
	v_cmp_lt_u32_e64 s1, 25, v26
	v_mul_lo_u16 v2, 0x4f, v2
	v_lshrrev_b16 v72, 11, v2
	v_mul_lo_u16 v0, v72, 26
	v_sub_nc_u16 v73, v38, v0
	v_mov_b32_e32 v0, 12
	v_mul_u32_u24_sdwa v0, v73, v0 dst_sel:DWORD dst_unused:UNUSED_PAD src0_sel:BYTE_0 src1_sel:DWORD
	v_lshlrev_b32_e32 v16, 2, v0
	s_clause 0x2
	global_load_dwordx4 v[0:3], v16, s[8:9] offset:96
	global_load_dwordx4 v[12:15], v16, s[8:9] offset:112
	;; [unrolled: 1-line block ×3, first 2 shown]
	ds_read_u16 v78, v50
	ds_read_u16 v77, v51
	;; [unrolled: 1-line block ×7, first 2 shown]
	ds_read_u16 v90, v44 offset:2496
	ds_read_u16 v109, v44 offset:2600
	;; [unrolled: 1-line block ×3, first 2 shown]
	s_waitcnt vmcnt(5) lgkmcnt(9)
	v_mul_f16_sdwa v89, v78, v8 dst_sel:DWORD dst_unused:UNUSED_PAD src0_sel:DWORD src1_sel:WORD_1
	v_mul_f16_sdwa v104, v88, v8 dst_sel:DWORD dst_unused:UNUSED_PAD src0_sel:DWORD src1_sel:WORD_1
	v_mul_f16_sdwa v102, v87, v9 dst_sel:DWORD dst_unused:UNUSED_PAD src0_sel:DWORD src1_sel:WORD_1
	v_mul_f16_sdwa v96, v86, v10 dst_sel:DWORD dst_unused:UNUSED_PAD src0_sel:DWORD src1_sel:WORD_1
	v_mul_f16_sdwa v92, v84, v11 dst_sel:DWORD dst_unused:UNUSED_PAD src0_sel:DWORD src1_sel:WORD_1
	v_fma_f16 v105, v88, v8, -v89
	v_fmac_f16_e32 v104, v78, v8
	s_waitcnt lgkmcnt(8)
	v_mul_f16_sdwa v8, v77, v9 dst_sel:DWORD dst_unused:UNUSED_PAD src0_sel:DWORD src1_sel:WORD_1
	s_waitcnt lgkmcnt(7)
	v_mul_f16_sdwa v78, v76, v10 dst_sel:DWORD dst_unused:UNUSED_PAD src0_sel:DWORD src1_sel:WORD_1
	v_fmac_f16_e32 v102, v77, v9
	s_waitcnt lgkmcnt(6)
	v_mul_f16_sdwa v88, v55, v11 dst_sel:DWORD dst_unused:UNUSED_PAD src0_sel:DWORD src1_sel:WORD_1
	v_fmac_f16_e32 v96, v76, v10
	v_fma_f16 v103, v87, v9, -v8
	ds_read_u16 v9, v44 offset:1664
	s_waitcnt vmcnt(4) lgkmcnt(5)
	v_mul_f16_sdwa v8, v53, v20 dst_sel:DWORD dst_unused:UNUSED_PAD src0_sel:DWORD src1_sel:WORD_1
	v_fma_f16 v97, v86, v10, -v78
	ds_read_u16 v10, v44 offset:1872
	v_fma_f16 v93, v84, v11, -v88
	v_fmac_f16_e32 v92, v55, v11
	v_fma_f16 v88, v81, v20, -v8
	ds_read_u16 v8, v44 offset:2080
	ds_read_u16 v11, v44 offset:1352
	v_mul_f16_sdwa v86, v81, v20 dst_sel:DWORD dst_unused:UNUSED_PAD src0_sel:DWORD src1_sel:WORD_1
	s_waitcnt lgkmcnt(7)
	v_mul_f16_sdwa v77, v52, v21 dst_sel:DWORD dst_unused:UNUSED_PAD src0_sel:DWORD src1_sel:WORD_1
	v_mul_f16_sdwa v76, v80, v21 dst_sel:DWORD dst_unused:UNUSED_PAD src0_sel:DWORD src1_sel:WORD_1
	;; [unrolled: 1-line block ×3, first 2 shown]
	s_waitcnt vmcnt(3)
	v_mul_f16_sdwa v94, v82, v4 dst_sel:DWORD dst_unused:UNUSED_PAD src0_sel:DWORD src1_sel:WORD_1
	v_fmac_f16_e32 v86, v53, v20
	s_waitcnt lgkmcnt(4)
	v_mul_f16_sdwa v20, v91, v22 dst_sel:DWORD dst_unused:UNUSED_PAD src0_sel:DWORD src1_sel:WORD_1
	v_fma_f16 v78, v80, v21, -v77
	ds_read_u16 v53, v44 offset:2288
	v_mul_f16_sdwa v77, v83, v22 dst_sel:DWORD dst_unused:UNUSED_PAD src0_sel:DWORD src1_sel:WORD_1
	v_fmac_f16_e32 v76, v52, v21
	v_fma_f16 v80, v83, v22, -v20
	s_waitcnt lgkmcnt(4)
	v_mul_f16_sdwa v81, v9, v23 dst_sel:DWORD dst_unused:UNUSED_PAD src0_sel:DWORD src1_sel:WORD_1
	ds_read_u16 v20, v44 offset:2184
	ds_read_u16 v21, v44 offset:1976
	;; [unrolled: 1-line block ×4, first 2 shown]
	v_fmac_f16_e32 v77, v91, v22
	s_waitcnt lgkmcnt(7)
	v_mul_f16_sdwa v83, v10, v4 dst_sel:DWORD dst_unused:UNUSED_PAD src0_sel:DWORD src1_sel:WORD_1
	ds_read_u16 v22, v44 offset:312
	v_fma_f16 v91, v85, v23, -v81
	v_fmac_f16_e32 v89, v9, v23
	ds_read_u16 v23, v44 offset:520
	ds_read_u16 v87, v44 offset:728
	s_waitcnt lgkmcnt(9)
	v_mul_f16_sdwa v9, v8, v5 dst_sel:DWORD dst_unused:UNUSED_PAD src0_sel:DWORD src1_sel:WORD_1
	v_mul_f16_sdwa v98, v79, v5 dst_sel:DWORD dst_unused:UNUSED_PAD src0_sel:DWORD src1_sel:WORD_1
	v_fma_f16 v95, v82, v4, -v83
	v_fmac_f16_e32 v94, v10, v4
	v_mul_f16_sdwa v100, v74, v6 dst_sel:DWORD dst_unused:UNUSED_PAD src0_sel:DWORD src1_sel:WORD_1
	v_fma_f16 v99, v79, v5, -v9
	v_fmac_f16_e32 v98, v8, v5
	ds_read_u16 v4, v44 offset:936
	ds_read_u16 v5, v44 offset:2392
	;; [unrolled: 1-line block ×3, first 2 shown]
	ds_read_u16 v106, v44
	s_waitcnt lgkmcnt(11)
	v_mul_f16_sdwa v81, v53, v6 dst_sel:DWORD dst_unused:UNUSED_PAD src0_sel:DWORD src1_sel:WORD_1
	v_mul_f16_sdwa v8, v90, v7 dst_sel:DWORD dst_unused:UNUSED_PAD src0_sel:DWORD src1_sel:WORD_1
	;; [unrolled: 1-line block ×3, first 2 shown]
	v_fmac_f16_e32 v100, v53, v6
	s_waitcnt vmcnt(2)
	v_mul_f16_sdwa v84, v71, v0 dst_sel:DWORD dst_unused:UNUSED_PAD src0_sel:DWORD src1_sel:WORD_1
	s_waitcnt lgkmcnt(6)
	v_mul_f16_sdwa v10, v22, v0 dst_sel:DWORD dst_unused:UNUSED_PAD src0_sel:DWORD src1_sel:WORD_1
	v_fma_f16 v107, v74, v6, -v81
	v_fma_f16 v108, v75, v7, -v8
	v_fmac_f16_e32 v101, v90, v7
	s_waitcnt lgkmcnt(5)
	v_mul_f16_sdwa v6, v23, v1 dst_sel:DWORD dst_unused:UNUSED_PAD src0_sel:DWORD src1_sel:WORD_1
	v_mul_f16_sdwa v82, v70, v1 dst_sel:DWORD dst_unused:UNUSED_PAD src0_sel:DWORD src1_sel:WORD_1
	s_waitcnt lgkmcnt(4)
	v_mul_f16_sdwa v7, v87, v2 dst_sel:DWORD dst_unused:UNUSED_PAD src0_sel:DWORD src1_sel:WORD_1
	v_mul_f16_sdwa v75, v69, v2 dst_sel:DWORD dst_unused:UNUSED_PAD src0_sel:DWORD src1_sel:WORD_1
	v_fma_f16 v85, v71, v0, -v10
	v_fmac_f16_e32 v84, v22, v0
	v_fma_f16 v83, v70, v1, -v6
	v_fmac_f16_e32 v82, v23, v1
	;; [unrolled: 2-line block ×3, first 2 shown]
	s_waitcnt lgkmcnt(3)
	v_mul_f16_sdwa v0, v4, v3 dst_sel:DWORD dst_unused:UNUSED_PAD src0_sel:DWORD src1_sel:WORD_1
	s_waitcnt vmcnt(1) lgkmcnt(1)
	v_mul_f16_sdwa v1, v9, v12 dst_sel:DWORD dst_unused:UNUSED_PAD src0_sel:DWORD src1_sel:WORD_1
	v_mul_f16_sdwa v2, v11, v13 dst_sel:DWORD dst_unused:UNUSED_PAD src0_sel:DWORD src1_sel:WORD_1
	v_mul_f16_sdwa v71, v65, v3 dst_sel:DWORD dst_unused:UNUSED_PAD src0_sel:DWORD src1_sel:WORD_1
	v_mul_f16_sdwa v69, v64, v12 dst_sel:DWORD dst_unused:UNUSED_PAD src0_sel:DWORD src1_sel:WORD_1
	v_fma_f16 v74, v65, v3, -v0
	v_fma_f16 v65, v64, v12, -v1
	;; [unrolled: 1-line block ×3, first 2 shown]
	v_mul_f16_sdwa v2, v55, v14 dst_sel:DWORD dst_unused:UNUSED_PAD src0_sel:DWORD src1_sel:WORD_1
	v_fmac_f16_e32 v71, v4, v3
	v_mul_f16_sdwa v0, v63, v13 dst_sel:DWORD dst_unused:UNUSED_PAD src0_sel:DWORD src1_sel:WORD_1
	v_mul_f16_sdwa v3, v52, v15 dst_sel:DWORD dst_unused:UNUSED_PAD src0_sel:DWORD src1_sel:WORD_1
	;; [unrolled: 1-line block ×3, first 2 shown]
	v_fma_f16 v63, v68, v14, -v2
	s_waitcnt vmcnt(0)
	v_mul_f16_sdwa v2, v21, v16 dst_sel:DWORD dst_unused:UNUSED_PAD src0_sel:DWORD src1_sel:WORD_1
	v_mul_f16_sdwa v70, v66, v15 dst_sel:DWORD dst_unused:UNUSED_PAD src0_sel:DWORD src1_sel:WORD_1
	v_fma_f16 v66, v66, v15, -v3
	v_mul_f16_sdwa v68, v61, v16 dst_sel:DWORD dst_unused:UNUSED_PAD src0_sel:DWORD src1_sel:WORD_1
	v_mul_f16_sdwa v3, v20, v17 dst_sel:DWORD dst_unused:UNUSED_PAD src0_sel:DWORD src1_sel:WORD_1
	;; [unrolled: 1-line block ×3, first 2 shown]
	v_fma_f16 v61, v61, v16, -v2
	v_sub_f16_e32 v2, v104, v101
	v_mul_f16_sdwa v81, v60, v17 dst_sel:DWORD dst_unused:UNUSED_PAD src0_sel:DWORD src1_sel:WORD_1
	v_fma_f16 v60, v60, v17, -v3
	v_fma_f16 v87, v67, v18, -v4
	v_mul_f16_sdwa v67, v67, v18 dst_sel:DWORD dst_unused:UNUSED_PAD src0_sel:DWORD src1_sel:WORD_1
	v_mul_f16_sdwa v3, v109, v19 dst_sel:DWORD dst_unused:UNUSED_PAD src0_sel:DWORD src1_sel:WORD_1
	v_add_f16_e32 v4, v105, v108
	v_mul_f16_e32 v6, 0xb770, v2
	v_fmac_f16_e32 v69, v9, v12
	v_fmac_f16_e32 v0, v11, v13
	v_mul_f16_sdwa v90, v62, v19 dst_sel:DWORD dst_unused:UNUSED_PAD src0_sel:DWORD src1_sel:WORD_1
	v_fmac_f16_e32 v67, v5, v18
	v_fma_f16 v62, v62, v19, -v3
	v_mul_f16_e32 v3, 0xba95, v2
	v_fma_f16 v5, v4, 0x3b15, -v6
	v_mul_f16_e32 v7, 0xbbf1, v2
	v_mul_f16_e32 v9, 0xbb7b, v2
	;; [unrolled: 1-line block ×4, first 2 shown]
	v_sub_f16_e32 v13, v102, v100
	v_fmac_f16_e32 v1, v55, v14
	v_fmac_f16_e32 v70, v52, v15
	;; [unrolled: 1-line block ×5, first 2 shown]
	v_fma_f16 v8, v4, 0x388b, -v3
	v_fmac_f16_e32 v3, 0x388b, v4
	v_fma_f16 v10, v4, 0x2fb7, -v7
	v_fmac_f16_e32 v7, 0x2fb7, v4
	;; [unrolled: 2-line block ×4, first 2 shown]
	v_add_f16_e32 v15, v103, v107
	v_mul_f16_e32 v16, 0xba95, v13
	v_fma_f16 v17, v4, 0xbbc4, -v2
	v_fmac_f16_e32 v2, 0xbbc4, v4
	v_add_f16_e32 v4, v57, v5
	v_mul_f16_e32 v5, 0xbb7b, v13
	v_fmac_f16_e32 v90, v109, v19
	v_fma_f16 v18, v15, 0x388b, -v16
	v_add_f16_e32 v6, v57, v6
	v_fmac_f16_e32 v16, 0x388b, v15
	v_add_f16_e32 v8, v57, v8
	v_fma_f16 v19, v15, 0xb5ac, -v5
	v_add_f16_e32 v3, v57, v3
	v_fmac_f16_e32 v5, 0xb5ac, v15
	v_add_f16_e32 v4, v18, v4
	v_mul_f16_e32 v18, 0xb3a8, v13
	v_add_f16_e32 v6, v16, v6
	v_add_f16_e32 v8, v19, v8
	v_mul_f16_e32 v16, 0x394e, v13
	v_mul_f16_e32 v19, 0x3bf1, v13
	v_add_f16_e32 v3, v5, v3
	v_add_f16_e32 v5, v57, v10
	v_fma_f16 v10, v15, 0xbbc4, -v18
	v_add_f16_e32 v12, v57, v12
	v_fma_f16 v20, v15, 0xb9fd, -v16
	v_add_f16_e32 v14, v57, v14
	v_fma_f16 v21, v15, 0x2fb7, -v19
	v_add_f16_e32 v7, v57, v7
	v_fmac_f16_e32 v18, 0xbbc4, v15
	v_add_f16_e32 v9, v57, v9
	v_fmac_f16_e32 v16, 0xb9fd, v15
	v_add_f16_e32 v5, v10, v5
	v_add_f16_e32 v10, v20, v12
	;; [unrolled: 1-line block ×3, first 2 shown]
	v_sub_f16_e32 v14, v96, v98
	v_add_f16_e32 v7, v18, v7
	v_add_f16_e32 v9, v16, v9
	;; [unrolled: 1-line block ×3, first 2 shown]
	v_mul_f16_e32 v13, 0x3770, v13
	v_fmac_f16_e32 v19, 0x2fb7, v15
	v_add_f16_e32 v16, v57, v17
	v_add_f16_e32 v17, v97, v99
	v_mul_f16_e32 v18, 0xbbf1, v14
	v_fma_f16 v20, v15, 0x3b15, -v13
	v_add_f16_e32 v11, v19, v11
	v_fmac_f16_e32 v13, 0x3b15, v15
	v_add_f16_e32 v2, v57, v2
	v_fma_f16 v15, v17, 0x2fb7, -v18
	v_fmac_f16_e32 v18, 0x2fb7, v17
	v_mul_f16_e32 v19, 0xb3a8, v14
	v_add_f16_e32 v16, v20, v16
	v_add_f16_e32 v2, v13, v2
	;; [unrolled: 1-line block ×3, first 2 shown]
	v_mul_f16_e32 v13, 0x3b7b, v14
	v_add_f16_e32 v6, v18, v6
	v_fma_f16 v15, v17, 0xbbc4, -v19
	v_mul_f16_e32 v18, 0x3770, v14
	v_fmac_f16_e32 v19, 0xbbc4, v17
	v_fma_f16 v20, v17, 0xb5ac, -v13
	v_fmac_f16_e32 v13, 0xb5ac, v17
	v_add_f16_e32 v8, v15, v8
	v_fma_f16 v15, v17, 0x3b15, -v18
	v_add_f16_e32 v3, v19, v3
	v_add_f16_e32 v21, v93, v95
	;; [unrolled: 1-line block ×3, first 2 shown]
	v_mul_f16_e32 v13, 0xba95, v14
	v_add_f16_e32 v10, v15, v10
	v_sub_f16_e32 v15, v92, v94
	v_mul_f16_e32 v14, 0xb94e, v14
	v_add_f16_e32 v5, v20, v5
	v_fma_f16 v19, v17, 0x388b, -v13
	v_fmac_f16_e32 v13, 0x388b, v17
	v_mul_f16_e32 v22, 0xbb7b, v15
	v_fmac_f16_e32 v18, 0x3b15, v17
	v_fma_f16 v20, v17, 0xb9fd, -v14
	v_fmac_f16_e32 v14, 0xb9fd, v17
	v_add_f16_e32 v11, v13, v11
	v_fma_f16 v13, v21, 0xb5ac, -v22
	v_mul_f16_e32 v17, 0x394e, v15
	v_add_f16_e32 v9, v18, v9
	v_add_f16_e32 v2, v14, v2
	v_mul_f16_e32 v18, 0xbbf1, v15
	v_add_f16_e32 v4, v13, v4
	v_mul_f16_e32 v13, 0x3770, v15
	v_fma_f16 v14, v21, 0xb9fd, -v17
	v_add_f16_e32 v12, v19, v12
	v_fmac_f16_e32 v22, 0xb5ac, v21
	v_fmac_f16_e32 v17, 0xb9fd, v21
	v_fma_f16 v19, v21, 0x3b15, -v13
	v_fmac_f16_e32 v13, 0x3b15, v21
	v_add_f16_e32 v8, v14, v8
	v_fma_f16 v14, v21, 0x2fb7, -v18
	v_add_f16_e32 v16, v20, v16
	v_add_f16_e32 v6, v22, v6
	v_add_f16_e32 v7, v13, v7
	v_mul_f16_e32 v13, 0x33a8, v15
	v_add_f16_e32 v10, v14, v10
	v_mul_f16_e32 v14, 0x3a95, v15
	v_sub_f16_e32 v15, v86, v89
	v_add_f16_e32 v3, v17, v3
	v_fma_f16 v17, v21, 0xbbc4, -v13
	v_fmac_f16_e32 v13, 0xbbc4, v21
	v_add_f16_e32 v20, v88, v91
	v_mul_f16_e32 v22, 0xb94e, v15
	v_add_f16_e32 v5, v19, v5
	v_fmac_f16_e32 v18, 0x2fb7, v21
	v_fma_f16 v19, v21, 0x388b, -v14
	v_fmac_f16_e32 v14, 0x388b, v21
	v_add_f16_e32 v12, v17, v12
	v_add_f16_e32 v11, v13, v11
	v_fma_f16 v13, v20, 0xb9fd, -v22
	v_mul_f16_e32 v17, 0x3bf1, v15
	v_add_f16_e32 v9, v18, v9
	v_add_f16_e32 v2, v14, v2
	v_mul_f16_e32 v18, 0x33a8, v15
	v_add_f16_e32 v4, v13, v4
	v_mul_f16_e32 v13, 0xba95, v15
	v_fma_f16 v14, v20, 0x2fb7, -v17
	v_add_f16_e32 v16, v19, v16
	v_fmac_f16_e32 v22, 0xb9fd, v20
	v_fmac_f16_e32 v17, 0x2fb7, v20
	v_fma_f16 v19, v20, 0x388b, -v13
	v_fmac_f16_e32 v13, 0x388b, v20
	v_add_f16_e32 v8, v14, v8
	v_fma_f16 v14, v20, 0xbbc4, -v18
	v_add_f16_e32 v6, v22, v6
	v_add_f16_e32 v3, v17, v3
	;; [unrolled: 1-line block ×3, first 2 shown]
	v_mul_f16_e32 v13, 0x3770, v15
	v_add_f16_e32 v10, v14, v10
	v_mul_f16_e32 v14, 0xbb7b, v15
	v_sub_f16_e32 v15, v76, v77
	v_add_f16_e32 v21, v78, v80
	v_fma_f16 v17, v20, 0x3b15, -v13
	v_fmac_f16_e32 v13, 0x3b15, v20
	v_add_f16_e32 v5, v19, v5
	v_mul_f16_e32 v22, 0xb3a8, v15
	v_fmac_f16_e32 v18, 0xbbc4, v20
	v_fma_f16 v19, v20, 0xb5ac, -v14
	v_fmac_f16_e32 v14, 0xb5ac, v20
	v_add_f16_e32 v12, v17, v12
	v_add_f16_e32 v11, v13, v11
	v_fma_f16 v13, v21, 0xbbc4, -v22
	v_mul_f16_e32 v17, 0x3770, v15
	v_add_f16_e32 v9, v18, v9
	v_add_f16_e32 v2, v14, v2
	v_mul_f16_e32 v18, 0x3a95, v15
	v_add_f16_e32 v4, v13, v4
	v_mul_f16_e32 v13, 0xb94e, v15
	v_fma_f16 v14, v21, 0x3b15, -v17
	v_add_f16_e32 v16, v19, v16
	v_fmac_f16_e32 v22, 0xbbc4, v21
	v_fmac_f16_e32 v17, 0x3b15, v21
	v_fma_f16 v19, v21, 0xb9fd, -v13
	v_fmac_f16_e32 v13, 0xb9fd, v21
	v_add_f16_e32 v8, v14, v8
	v_fma_f16 v14, v21, 0x388b, -v18
	v_add_f16_e32 v6, v22, v6
	v_add_f16_e32 v3, v17, v3
	;; [unrolled: 1-line block ×3, first 2 shown]
	v_mul_f16_e32 v13, 0xbb7b, v15
	v_add_f16_e32 v10, v14, v10
	v_mul_f16_e32 v14, 0x3bf1, v15
	v_sub_f16_e32 v15, v84, v90
	v_add_f16_e32 v5, v19, v5
	v_fmac_f16_e32 v18, 0x388b, v21
	v_fma_f16 v17, v21, 0xb5ac, -v13
	v_fmac_f16_e32 v13, 0xb5ac, v21
	v_fma_f16 v19, v21, 0x2fb7, -v14
	v_add_f16_e32 v20, v85, v62
	v_mul_f16_e32 v22, 0xbbf1, v15
	v_fmac_f16_e32 v14, 0x2fb7, v21
	v_sub_f16_e32 v21, v82, v67
	v_add_f16_e32 v9, v18, v9
	v_add_f16_e32 v12, v17, v12
	v_fma_f16 v17, v20, 0x2fb7, -v22
	v_add_f16_e32 v18, v83, v87
	v_mul_f16_e32 v23, 0xb3a8, v21
	v_add_f16_e32 v11, v13, v11
	v_fmac_f16_e32 v22, 0x2fb7, v20
	v_add_f16_e32 v13, v19, v16
	v_add_f16_e32 v16, v58, v17
	v_fma_f16 v17, v18, 0xbbc4, -v23
	v_mul_f16_e32 v19, 0xbb7b, v15
	v_add_f16_e32 v22, v58, v22
	v_fmac_f16_e32 v23, 0xbbc4, v18
	v_add_f16_e32 v14, v14, v2
	v_add_f16_e32 v2, v17, v16
	v_mul_f16_e32 v17, 0xb94e, v15
	v_fma_f16 v16, v20, 0xb5ac, -v19
	v_add_f16_e32 v22, v23, v22
	v_mul_f16_e32 v23, 0x394e, v21
	v_fmac_f16_e32 v19, 0xb5ac, v20
	v_fma_f16 v52, v20, 0xb9fd, -v17
	v_mul_f16_e32 v53, 0x3bf1, v21
	v_add_f16_e32 v16, v58, v16
	v_fma_f16 v55, v18, 0xb9fd, -v23
	v_add_f16_e32 v19, v58, v19
	v_fmac_f16_e32 v23, 0xb9fd, v18
	v_add_f16_e32 v52, v58, v52
	v_fma_f16 v109, v18, 0x2fb7, -v53
	v_mul_f16_e32 v110, 0xb3a8, v15
	v_fmac_f16_e32 v17, 0xb9fd, v20
	v_add_f16_e32 v19, v23, v19
	v_add_f16_e32 v16, v55, v16
	;; [unrolled: 1-line block ×3, first 2 shown]
	v_sub_f16_e32 v109, v75, v81
	v_fma_f16 v52, v20, 0xbbc4, -v110
	v_add_f16_e32 v17, v58, v17
	v_mul_f16_e32 v55, 0x3770, v21
	v_fmac_f16_e32 v53, 0x2fb7, v18
	v_fmac_f16_e32 v110, 0xbbc4, v20
	v_add_f16_e32 v111, v79, v60
	v_mul_f16_e32 v112, 0x3b7b, v109
	v_fma_f16 v113, v18, 0x3b15, -v55
	v_fmac_f16_e32 v55, 0x3b15, v18
	v_add_f16_e32 v110, v58, v110
	v_add_f16_e32 v17, v53, v17
	v_fma_f16 v53, v111, 0xb5ac, -v112
	v_mul_f16_e32 v114, 0x3770, v109
	v_add_f16_e32 v52, v58, v52
	v_add_f16_e32 v55, v55, v110
	v_fmac_f16_e32 v112, 0xb5ac, v111
	v_add_f16_e32 v2, v53, v2
	v_fma_f16 v53, v111, 0x3b15, -v114
	v_mul_f16_e32 v110, 0xba95, v109
	v_add_f16_e32 v52, v113, v52
	v_fmac_f16_e32 v114, 0x3b15, v111
	v_add_f16_e32 v22, v112, v22
	v_mul_f16_e32 v112, 0xb94e, v109
	v_add_f16_e32 v16, v53, v16
	v_fma_f16 v53, v111, 0x388b, -v110
	v_sub_f16_e32 v113, v71, v68
	v_fmac_f16_e32 v110, 0x388b, v111
	v_add_f16_e32 v19, v114, v19
	v_fma_f16 v114, v111, 0xb9fd, -v112
	v_add_f16_e32 v23, v53, v23
	v_add_f16_e32 v53, v74, v61
	v_mul_f16_e32 v115, 0x3770, v113
	v_fmac_f16_e32 v112, 0xb9fd, v111
	v_add_f16_e32 v17, v110, v17
	v_mul_f16_e32 v110, 0xbbf1, v113
	v_add_f16_e32 v52, v114, v52
	v_fma_f16 v114, v53, 0x3b15, -v115
	v_add_f16_e32 v55, v112, v55
	v_fmac_f16_e32 v115, 0x3b15, v53
	v_mul_f16_e32 v112, 0x33a8, v113
	v_fma_f16 v116, v53, 0x2fb7, -v110
	v_fmac_f16_e32 v110, 0x2fb7, v53
	v_add_f16_e32 v2, v114, v2
	v_add_f16_e32 v22, v115, v22
	v_fma_f16 v114, v53, 0xbbc4, -v112
	v_mul_f16_e32 v115, 0x3a95, v113
	v_add_f16_e32 v19, v110, v19
	v_sub_f16_e32 v110, v69, v70
	v_add_f16_e32 v16, v116, v16
	v_add_f16_e32 v23, v114, v23
	v_fmac_f16_e32 v112, 0xbbc4, v53
	v_fma_f16 v114, v53, 0x388b, -v115
	v_add_f16_e32 v116, v65, v66
	v_mul_f16_e32 v117, 0xba95, v110
	v_fmac_f16_e32 v115, 0x388b, v53
	v_add_f16_e32 v17, v112, v17
	v_add_f16_e32 v52, v114, v52
	v_mul_f16_e32 v112, 0x33a8, v110
	v_fma_f16 v114, v116, 0x388b, -v117
	v_pk_mul_f16 v15, 0xb770ba95, v15 op_sel_hi:[1,0]
	v_add_f16_e32 v55, v115, v55
	v_pk_mul_f16 v21, 0xba95bb7b, v21 op_sel_hi:[1,0]
	v_fma_f16 v115, v116, 0xbbc4, -v112
	v_add_f16_e32 v114, v114, v2
	v_fmac_f16_e32 v112, 0xbbc4, v116
	v_pk_fma_f16 v2, 0x3b15388b, v20, v15 op_sel_hi:[1,0,1] neg_lo:[0,0,1] neg_hi:[0,0,1]
	v_pk_fma_f16 v15, 0x3b15388b, v20, v15 op_sel_hi:[1,0,1]
	v_pk_mul_f16 v109, 0xbbf1b3a8, v109 op_sel_hi:[1,0]
	v_add_f16_e32 v16, v115, v16
	v_add_f16_e32 v19, v112, v19
	v_add_f16_sdwa v20, v58, v2 dst_sel:DWORD dst_unused:UNUSED_PAD src0_sel:DWORD src1_sel:WORD_1
	v_add_f16_e32 v2, v58, v2
	v_pk_fma_f16 v112, 0x388bb5ac, v18, v21 op_sel_hi:[1,0,1] neg_lo:[0,0,1] neg_hi:[0,0,1]
	v_pk_fma_f16 v18, 0x388bb5ac, v18, v21 op_sel_hi:[1,0,1]
	v_mul_f16_e32 v21, 0x3770, v110
	v_pk_add_f16 v15, v58, v15 op_sel_hi:[0,1]
	v_pk_fma_f16 v115, 0x2fb7bbc4, v111, v109 op_sel_hi:[1,0,1] neg_lo:[0,0,1] neg_hi:[0,0,1]
	v_add_f16_sdwa v20, v112, v20 dst_sel:DWORD dst_unused:UNUSED_PAD src0_sel:WORD_1 src1_sel:DWORD
	v_add_f16_e32 v2, v112, v2
	v_fma_f16 v112, v116, 0x3b15, -v21
	v_pk_add_f16 v15, v18, v15
	v_pk_fma_f16 v18, 0x2fb7bbc4, v111, v109 op_sel_hi:[1,0,1]
	v_pk_mul_f16 v109, 0xbb7b394e, v113 op_sel_hi:[1,0]
	v_fmac_f16_e32 v21, 0x3b15, v116
	v_add_f16_e32 v57, v57, v105
	v_add_f16_sdwa v20, v115, v20 dst_sel:DWORD dst_unused:UNUSED_PAD src0_sel:WORD_1 src1_sel:DWORD
	v_pk_add_f16 v15, v18, v15
	v_pk_fma_f16 v18, 0xb5acb9fd, v53, v109 op_sel_hi:[1,0,1]
	v_add_f16_e32 v17, v21, v17
	v_mul_f16_e32 v21, 0xbb7b, v110
	v_add_f16_e32 v2, v115, v2
	v_pk_fma_f16 v111, 0xb5acb9fd, v53, v109 op_sel_hi:[1,0,1] neg_lo:[0,0,1] neg_hi:[0,0,1]
	v_pk_mul_f16 v53, 0xb94e3bf1, v110 op_sel_hi:[1,0]
	v_pk_add_f16 v15, v18, v15
	v_fma_f16 v18, v116, 0xb5ac, -v21
	v_sub_f16_e32 v109, v0, v1
	v_fmac_f16_e32 v21, 0xb5ac, v116
	v_add_f16_e32 v57, v57, v103
	v_add_f16_e32 v23, v112, v23
	v_add_f16_sdwa v20, v111, v20 dst_sel:DWORD dst_unused:UNUSED_PAD src0_sel:WORD_1 src1_sel:DWORD
	v_add_f16_e32 v2, v111, v2
	v_pk_fma_f16 v110, 0xb9fd2fb7, v116, v53 op_sel_hi:[1,0,1] neg_lo:[0,0,1] neg_hi:[0,0,1]
	v_add_f16_e32 v111, v64, v63
	v_pk_mul_f16 v112, 0xb3a83770, v109 op_sel_hi:[1,0]
	v_pk_fma_f16 v53, 0xb9fd2fb7, v116, v53 op_sel_hi:[1,0,1]
	v_add_f16_e32 v21, v21, v55
	v_add_f16_e32 v55, v57, v97
	;; [unrolled: 1-line block ×3, first 2 shown]
	v_add_f16_sdwa v20, v110, v20 dst_sel:DWORD dst_unused:UNUSED_PAD src0_sel:WORD_1 src1_sel:DWORD
	v_pk_fma_f16 v52, 0xbbc43b15, v111, v112 op_sel_hi:[1,0,1] neg_lo:[0,0,1] neg_hi:[0,0,1]
	v_add_f16_e32 v2, v110, v2
	v_pk_add_f16 v15, v53, v15
	v_pk_fma_f16 v53, 0xbbc43b15, v111, v112 op_sel_hi:[1,0,1]
	v_add_f16_e32 v55, v55, v93
	v_add_f16_sdwa v20, v52, v20 dst_sel:DWORD dst_unused:UNUSED_PAD src0_sel:WORD_1 src1_sel:DWORD
	v_add_f16_e32 v52, v52, v2
	v_fmac_f16_e32 v117, 0x388b, v116
	v_pk_add_f16 v2, v53, v15
	v_add_f16_e32 v15, v55, v88
	v_add_f16_e32 v55, v58, v85
	v_mul_f16_e32 v57, 0xb94e, v109
	v_add_f16_e32 v22, v117, v22
	v_mul_f16_e32 v110, 0x3a95, v109
	v_add_f16_e32 v15, v15, v78
	v_add_f16_e32 v55, v55, v83
	v_fma_f16 v53, v111, 0xb9fd, -v57
	v_fmac_f16_e32 v57, 0xb9fd, v111
	v_fma_f16 v58, v111, 0x388b, -v110
	v_add_f16_e32 v15, v15, v80
	v_add_f16_e32 v55, v55, v79
	s_waitcnt lgkmcnt(0)
	v_add_f16_e32 v22, v57, v22
	v_mul_f16_e32 v57, 0xbb7b, v109
	v_add_f16_e32 v15, v15, v91
	v_add_f16_e32 v55, v55, v74
	;; [unrolled: 1-line block ×3, first 2 shown]
	v_mul_f16_e32 v58, 0x3bf1, v109
	v_fma_f16 v109, v111, 0xb5ac, -v57
	v_add_f16_e32 v15, v15, v95
	v_add_f16_e32 v55, v55, v65
	v_fmac_f16_e32 v57, 0xb5ac, v111
	s_barrier
	buffer_gl0_inv
	v_add_f16_e32 v15, v15, v99
	v_add_f16_e32 v55, v55, v64
	v_add_f16_e32 v17, v57, v17
	v_lshlrev_b32_e32 v57, 1, v59
	v_cndmask_b32_e64 v59, 0, 0x2a4, s1
	v_add_f16_e32 v15, v15, v107
	v_add_f16_e32 v55, v55, v63
	v_fmac_f16_e32 v110, 0x388b, v111
	v_fma_f16 v112, v111, 0x2fb7, -v58
	v_add3_u32 v57, 0, v59, v57
	v_add_f16_e32 v15, v15, v108
	v_add_f16_e32 v55, v55, v66
	ds_write_b16 v57, v15
	ds_write_b16 v57, v4 offset:52
	v_add_f16_e32 v4, v55, v61
	ds_write_b16 v57, v8 offset:104
	ds_write_b16 v57, v5 offset:156
	v_mov_b32_e32 v5, 0x2a4
	v_mov_b32_e32 v8, 1
	v_fmac_f16_e32 v58, 0x2fb7, v111
	v_add_f16_e32 v4, v4, v60
	v_add_f16_e32 v53, v53, v114
	v_mul_u32_u24_sdwa v5, v72, v5 dst_sel:DWORD dst_unused:UNUSED_PAD src0_sel:WORD_0 src1_sel:DWORD
	v_lshlrev_b32_sdwa v8, v8, v73 dst_sel:DWORD dst_unused:UNUSED_PAD src0_sel:DWORD src1_sel:BYTE_0
	v_add_f16_e32 v19, v110, v19
	v_add_f16_e32 v4, v4, v87
	;; [unrolled: 1-line block ×5, first 2 shown]
	v_add3_u32 v58, 0, v5, v8
	v_add_f16_e32 v4, v4, v62
	ds_write_b16 v57, v10 offset:208
	ds_write_b16 v57, v12 offset:260
	;; [unrolled: 1-line block ×9, first 2 shown]
	ds_write_b16 v58, v4
	ds_write_b16 v58, v20 offset:52
	ds_write_b16 v58, v52 offset:104
	;; [unrolled: 1-line block ×11, first 2 shown]
	ds_write_b16_d16_hi v58, v2 offset:624
	s_waitcnt lgkmcnt(0)
	s_barrier
	buffer_gl0_inv
	v_lshl_add_u32 v72, v39, 1, 0
	ds_read_u16 v17, v51
	ds_read_u16 v14, v44 offset:2236
	ds_read_u16 v5, v44
	ds_read_u16 v7, v44 offset:676
	ds_read_u16 v9, v44 offset:780
	;; [unrolled: 1-line block ×5, first 2 shown]
	v_lshl_add_u32 v59, v41, 1, 0
	ds_read_u16 v11, v44 offset:1456
	ds_read_u16 v18, v44 offset:1560
	;; [unrolled: 1-line block ×6, first 2 shown]
	ds_read_u16 v8, v50
	ds_read_u16 v50, v59
	ds_read_u16 v12, v44 offset:1352
	ds_read_u16 v52, v44 offset:1196
	;; [unrolled: 1-line block ×5, first 2 shown]
	ds_read_u16 v15, v72
	ds_read_u16 v6, v45
	ds_read_u16 v53, v44 offset:2548
	v_sub_nc_u32_e32 v3, 0, v49
	v_sub_nc_u32_e32 v73, 0, v47
                                        ; implicit-def: $vgpr4
	v_add_nc_u32_e32 v49, v48, v3
	v_sub_nc_u32_e32 v48, 0, v46
                                        ; implicit-def: $vgpr3
	s_and_saveexec_b32 s1, s0
	s_cbranch_execz .LBB0_15
; %bb.14:
	ds_read_u16 v2, v49
	s_waitcnt lgkmcnt(0)
	ds_read_u16_d16_hi v2, v44 offset:1300
	ds_read_u16 v3, v44 offset:1976
	ds_read_u16 v4, v44 offset:2652
.LBB0_15:
	s_or_b32 exec_lo, exec_lo, s1
	v_add_f16_e32 v46, v106, v104
	v_sub_f16_e32 v47, v105, v108
	v_add_f16_e32 v104, v104, v101
	v_add_f16_e32 v105, v102, v100
	v_sub_f16_e32 v103, v103, v107
	v_add_f16_e32 v46, v46, v102
	v_mul_f16_e32 v102, 0xb770, v47
	v_mul_f16_e32 v107, 0xba95, v47
	;; [unrolled: 1-line block ×4, first 2 shown]
	v_add_f16_e32 v46, v46, v96
	v_mul_f16_e32 v110, 0xb94e, v47
	v_mul_f16_e32 v47, 0xb3a8, v47
	;; [unrolled: 1-line block ×4, first 2 shown]
	v_add_f16_e32 v46, v46, v92
	v_fmamk_f16 v114, v104, 0x3b15, v102
	v_fma_f16 v102, v104, 0x3b15, -v102
	v_fmamk_f16 v115, v104, 0x388b, v107
	v_fma_f16 v107, v104, 0x388b, -v107
	v_add_f16_e32 v46, v46, v86
	v_fmamk_f16 v119, v104, 0xbbc4, v47
	v_fma_f16 v47, v104, 0xbbc4, -v47
	v_mul_f16_e32 v113, 0xb3a8, v103
	v_fmamk_f16 v116, v104, 0x2fb7, v108
	v_add_f16_e32 v46, v46, v76
	v_fma_f16 v108, v104, 0x2fb7, -v108
	v_fmamk_f16 v117, v104, 0xb5ac, v109
	v_fma_f16 v109, v104, 0xb5ac, -v109
	v_fmamk_f16 v118, v104, 0xb9fd, v110
	v_add_f16_e32 v46, v46, v77
	v_fma_f16 v110, v104, 0xb9fd, -v110
	v_fmamk_f16 v104, v105, 0x388b, v111
	v_fma_f16 v111, v105, 0x388b, -v111
	v_fmamk_f16 v120, v105, 0xb5ac, v112
	v_add_f16_e32 v46, v46, v89
	v_fma_f16 v112, v105, 0xb5ac, -v112
	v_add_f16_e32 v102, v106, v102
	v_add_f16_e32 v107, v106, v107
	;; [unrolled: 1-line block ×6, first 2 shown]
	v_fma_f16 v111, v105, 0xbbc4, -v113
	v_sub_f16_e32 v97, v97, v99
	v_add_f16_e32 v46, v46, v98
	v_add_f16_e32 v114, v106, v114
	v_add_f16_e32 v118, v106, v118
	v_add_f16_e32 v110, v106, v110
	v_add_f16_e32 v108, v111, v108
	v_add_f16_e32 v46, v46, v100
	v_add_f16_e32 v100, v106, v47
	v_mul_f16_e32 v99, 0x3770, v103
	v_add_f16_e32 v96, v96, v98
	v_mul_f16_e32 v98, 0xbbf1, v97
	v_add_f16_e32 v47, v46, v101
	v_mul_f16_e32 v46, 0x394e, v103
	v_add_f16_e32 v101, v112, v107
	v_fmamk_f16 v107, v105, 0xbbc4, v113
	v_mul_f16_e32 v112, 0x3bf1, v103
	v_add_f16_e32 v115, v106, v115
	v_fmamk_f16 v113, v105, 0xb9fd, v46
	v_fma_f16 v46, v105, 0xb9fd, -v46
	v_add_f16_e32 v104, v104, v114
	v_fmamk_f16 v111, v105, 0x2fb7, v112
	v_add_f16_e32 v116, v106, v116
	v_add_f16_e32 v117, v106, v117
	;; [unrolled: 1-line block ×3, first 2 shown]
	v_fma_f16 v109, v105, 0x2fb7, -v112
	v_add_f16_e32 v103, v111, v118
	v_fmamk_f16 v111, v105, 0x3b15, v99
	v_fma_f16 v99, v105, 0x3b15, -v99
	v_add_f16_e32 v119, v106, v119
	v_add_f16_e32 v105, v109, v110
	v_mul_f16_e32 v109, 0xb3a8, v97
	v_fmamk_f16 v110, v96, 0x2fb7, v98
	v_fma_f16 v98, v96, 0x2fb7, -v98
	v_add_f16_e32 v106, v120, v115
	v_add_f16_e32 v99, v99, v100
	v_fmamk_f16 v100, v96, 0xbbc4, v109
	v_add_f16_e32 v104, v110, v104
	v_fma_f16 v109, v96, 0xbbc4, -v109
	v_mul_f16_e32 v110, 0x3b7b, v97
	v_add_f16_e32 v98, v98, v102
	v_mul_f16_e32 v102, 0x3770, v97
	v_add_f16_e32 v107, v107, v116
	v_add_f16_e32 v100, v100, v106
	v_add_f16_e32 v101, v109, v101
	v_fmamk_f16 v106, v96, 0xb5ac, v110
	v_fma_f16 v109, v96, 0xb5ac, -v110
	v_mul_f16_e32 v110, 0xba95, v97
	v_fmamk_f16 v112, v96, 0x3b15, v102
	v_fma_f16 v102, v96, 0x3b15, -v102
	v_sub_f16_e32 v93, v93, v95
	v_add_f16_e32 v106, v106, v107
	v_add_f16_e32 v107, v109, v108
	v_fmamk_f16 v108, v96, 0x388b, v110
	v_add_f16_e32 v46, v102, v46
	v_mul_f16_e32 v95, 0xb94e, v97
	v_fma_f16 v102, v96, 0x388b, -v110
	v_add_f16_e32 v92, v92, v94
	v_mul_f16_e32 v94, 0xbb7b, v93
	v_add_f16_e32 v97, v108, v103
	v_fmamk_f16 v103, v96, 0xb9fd, v95
	v_fma_f16 v95, v96, 0xb9fd, -v95
	v_add_f16_e32 v96, v102, v105
	v_mul_f16_e32 v102, 0x394e, v93
	v_fmamk_f16 v105, v92, 0xb5ac, v94
	v_fma_f16 v94, v92, 0xb5ac, -v94
	v_add_f16_e32 v95, v95, v99
	v_sub_f16_e32 v88, v88, v91
	v_fmamk_f16 v99, v92, 0xb9fd, v102
	v_add_f16_e32 v104, v105, v104
	v_fma_f16 v102, v92, 0xb9fd, -v102
	v_mul_f16_e32 v105, 0x3770, v93
	v_add_f16_e32 v94, v94, v98
	v_add_f16_e32 v98, v99, v100
	v_mul_f16_e32 v99, 0xbbf1, v93
	v_add_f16_e32 v100, v102, v101
	v_fmamk_f16 v101, v92, 0x3b15, v105
	v_fma_f16 v102, v92, 0x3b15, -v105
	v_mul_f16_e32 v105, 0x33a8, v93
	v_fmamk_f16 v108, v92, 0x2fb7, v99
	v_fma_f16 v99, v92, 0x2fb7, -v99
	v_add_f16_e32 v101, v101, v106
	v_mul_f16_e32 v91, 0x3a95, v93
	v_fmamk_f16 v106, v92, 0xbbc4, v105
	v_add_f16_e32 v86, v86, v89
	v_add_f16_e32 v46, v99, v46
	v_mul_f16_e32 v89, 0xb94e, v88
	v_fmamk_f16 v99, v92, 0x388b, v91
	v_add_f16_e32 v93, v106, v97
	v_fma_f16 v97, v92, 0xbbc4, -v105
	v_fma_f16 v91, v92, 0x388b, -v91
	v_add_f16_e32 v111, v111, v119
	v_sub_f16_e32 v78, v78, v80
	v_add_f16_e32 v76, v76, v77
	v_add_f16_e32 v92, v97, v96
	v_mul_f16_e32 v96, 0x3bf1, v88
	v_fmamk_f16 v97, v86, 0xb9fd, v89
	v_add_f16_e32 v91, v91, v95
	v_fma_f16 v89, v86, 0xb9fd, -v89
	v_add_f16_e32 v103, v103, v111
	v_fmamk_f16 v95, v86, 0x2fb7, v96
	v_add_f16_e32 v97, v97, v104
	v_fma_f16 v96, v86, 0x2fb7, -v96
	v_add_f16_e32 v89, v89, v94
	v_add_f16_e32 v99, v99, v103
	;; [unrolled: 1-line block ×3, first 2 shown]
	v_mul_f16_e32 v95, 0x33a8, v88
	v_mul_f16_e32 v103, 0xba95, v88
	v_add_f16_e32 v96, v96, v100
	v_mul_f16_e32 v77, 0xb3a8, v78
	v_add_f16_e32 v113, v113, v117
	v_fmamk_f16 v104, v86, 0xbbc4, v95
	v_fma_f16 v95, v86, 0xbbc4, -v95
	v_fmamk_f16 v98, v86, 0x388b, v103
	v_fma_f16 v100, v86, 0x388b, -v103
	v_mul_f16_e32 v103, 0x3770, v88
	v_mul_f16_e32 v88, 0xbb7b, v88
	v_add_f16_e32 v46, v95, v46
	v_add_f16_e32 v95, v56, v84
	;; [unrolled: 1-line block ×3, first 2 shown]
	v_fmamk_f16 v101, v86, 0x3b15, v103
	v_fma_f16 v80, v86, 0x3b15, -v103
	v_add_f16_e32 v102, v102, v107
	v_add_f16_e32 v95, v95, v82
	;; [unrolled: 1-line block ×4, first 2 shown]
	v_fmamk_f16 v101, v86, 0xb5ac, v88
	v_fma_f16 v86, v86, 0xb5ac, -v88
	v_add_f16_e32 v88, v95, v75
	v_add_f16_e32 v80, v80, v92
	v_fmamk_f16 v95, v76, 0xbbc4, v77
	v_add_f16_e32 v92, v101, v99
	v_mul_f16_e32 v99, 0x3770, v78
	v_add_f16_e32 v88, v88, v71
	v_fma_f16 v77, v76, 0xbbc4, -v77
	v_add_f16_e32 v86, v86, v91
	v_add_f16_e32 v91, v95, v97
	v_fmamk_f16 v95, v76, 0x3b15, v99
	v_add_f16_e32 v88, v88, v69
	v_mul_f16_e32 v97, 0xb94e, v78
	v_add_f16_e32 v77, v77, v89
	v_fma_f16 v89, v76, 0x3b15, -v99
	v_mul_f16_e32 v99, 0x3a95, v78
	v_add_f16_e32 v88, v88, v0
	v_add_f16_e32 v94, v95, v94
	v_fmamk_f16 v95, v76, 0xb9fd, v97
	v_add_f16_e32 v89, v89, v96
	v_fma_f16 v96, v76, 0xb9fd, -v97
	v_add_f16_e32 v88, v88, v1
	v_fmamk_f16 v97, v76, 0x388b, v99
	v_fma_f16 v99, v76, 0x388b, -v99
	v_add_f16_e32 v100, v100, v102
	v_add_f16_e32 v95, v95, v98
	;; [unrolled: 1-line block ×3, first 2 shown]
	v_mul_f16_e32 v98, 0xbb7b, v78
	v_add_f16_e32 v99, v99, v46
	v_mul_f16_e32 v78, 0x3bf1, v78
	v_sub_f16_e32 v62, v85, v62
	v_add_f16_e32 v46, v88, v68
	v_add_f16_e32 v107, v108, v109
	v_add_f16_e32 v96, v96, v100
	v_fmamk_f16 v100, v76, 0xb5ac, v98
	v_fma_f16 v98, v76, 0xb5ac, -v98
	v_add_f16_e32 v46, v46, v81
	v_fmamk_f16 v85, v76, 0x2fb7, v78
	v_fma_f16 v76, v76, 0x2fb7, -v78
	v_add_f16_e32 v78, v84, v90
	v_mul_f16_e32 v84, 0xbbf1, v62
	v_add_f16_e32 v46, v46, v67
	v_sub_f16_e32 v83, v83, v87
	v_add_f16_e32 v102, v104, v107
	v_add_f16_e32 v85, v85, v92
	v_fmamk_f16 v92, v78, 0x2fb7, v84
	v_add_f16_e32 v90, v46, v90
	v_fma_f16 v46, v78, 0x2fb7, -v84
	v_mul_f16_e32 v84, 0xb94e, v62
	v_add_f16_e32 v67, v82, v67
	v_mul_f16_e32 v82, 0xb3a8, v83
	v_add_f16_e32 v97, v97, v102
	v_add_f16_e32 v88, v100, v93
	;; [unrolled: 1-line block ×5, first 2 shown]
	v_fmamk_f16 v98, v78, 0xb9fd, v84
	v_mul_f16_e32 v100, 0xb3a8, v62
	v_fmamk_f16 v102, v67, 0xbbc4, v82
	v_fma_f16 v82, v67, 0xbbc4, -v82
	v_mul_f16_e32 v103, 0x3bf1, v83
	v_add_f16_e32 v76, v76, v86
	v_mul_f16_e32 v86, 0xbb7b, v62
	v_add_f16_e32 v87, v56, v98
	v_fma_f16 v84, v78, 0xb9fd, -v84
	v_fmamk_f16 v98, v78, 0xbbc4, v100
	v_add_f16_e32 v92, v102, v92
	v_add_f16_e32 v46, v82, v46
	v_fmamk_f16 v82, v67, 0x2fb7, v103
	v_mul_f16_e32 v102, 0x3770, v83
	v_fmamk_f16 v93, v78, 0xb5ac, v86
	v_fma_f16 v86, v78, 0xb5ac, -v86
	v_add_f16_e32 v84, v56, v84
	v_add_f16_e32 v98, v56, v98
	v_mul_f16_e32 v101, 0x394e, v83
	v_sub_f16_e32 v60, v79, v60
	v_add_f16_e32 v79, v82, v87
	v_fma_f16 v82, v67, 0x2fb7, -v103
	v_fmamk_f16 v87, v67, 0x3b15, v102
	v_add_f16_e32 v93, v56, v93
	v_add_f16_e32 v86, v56, v86
	v_fma_f16 v100, v78, 0xbbc4, -v100
	v_fmamk_f16 v104, v67, 0xb9fd, v101
	v_fma_f16 v101, v67, 0xb9fd, -v101
	v_add_f16_e32 v75, v75, v81
	v_mul_f16_e32 v81, 0x3b7b, v60
	v_add_f16_e32 v82, v82, v84
	v_add_f16_e32 v84, v87, v98
	v_mul_f16_e32 v87, 0x3770, v60
	v_add_f16_e32 v100, v56, v100
	v_add_f16_e32 v93, v104, v93
	;; [unrolled: 1-line block ×3, first 2 shown]
	v_fma_f16 v101, v67, 0x3b15, -v102
	v_fmamk_f16 v98, v75, 0xb5ac, v81
	v_fma_f16 v81, v75, 0xb5ac, -v81
	v_fmamk_f16 v102, v75, 0x3b15, v87
	v_fma_f16 v87, v75, 0x3b15, -v87
	v_add_f16_e32 v100, v101, v100
	v_mul_f16_e32 v101, 0xba95, v60
	v_add_f16_e32 v46, v81, v46
	v_add_f16_e32 v81, v102, v93
	v_mul_f16_e32 v93, 0xb94e, v60
	v_sub_f16_e32 v61, v74, v61
	v_add_f16_e32 v92, v98, v92
	v_fmamk_f16 v98, v75, 0x388b, v101
	v_add_f16_e32 v86, v87, v86
	v_fma_f16 v74, v75, 0x388b, -v101
	v_fmamk_f16 v87, v75, 0xb9fd, v93
	v_fma_f16 v93, v75, 0xb9fd, -v93
	v_add_f16_e32 v68, v71, v68
	v_mul_f16_e32 v71, 0x3770, v61
	v_add_f16_e32 v79, v98, v79
	v_add_f16_e32 v74, v74, v82
	;; [unrolled: 1-line block ×4, first 2 shown]
	v_fmamk_f16 v93, v68, 0x3b15, v71
	v_fma_f16 v71, v68, 0x3b15, -v71
	v_mul_f16_e32 v98, 0x33a8, v61
	v_mul_f16_e32 v84, 0xbbf1, v61
	v_sub_f16_e32 v65, v65, v66
	v_mul_f16_e32 v66, 0x3a95, v61
	v_add_f16_e32 v46, v71, v46
	v_fmamk_f16 v71, v68, 0xbbc4, v98
	v_fmamk_f16 v100, v68, 0x2fb7, v84
	v_fma_f16 v84, v68, 0x2fb7, -v84
	v_add_f16_e32 v69, v69, v70
	v_mul_f16_e32 v70, 0xba95, v65
	v_add_f16_e32 v71, v71, v79
	v_fma_f16 v79, v68, 0xbbc4, -v98
	v_add_f16_e32 v92, v93, v92
	v_add_f16_e32 v84, v84, v86
	v_fmamk_f16 v86, v68, 0x388b, v66
	v_fma_f16 v66, v68, 0x388b, -v66
	v_add_f16_e32 v74, v79, v74
	v_mul_f16_e32 v79, 0x33a8, v65
	v_fmamk_f16 v93, v69, 0x388b, v70
	v_add_f16_e32 v82, v86, v82
	v_add_f16_e32 v66, v66, v87
	v_fma_f16 v70, v69, 0x388b, -v70
	v_fmamk_f16 v86, v69, 0xbbc4, v79
	v_add_f16_e32 v87, v93, v92
	v_mul_f16_e32 v92, 0x3770, v65
	v_fma_f16 v79, v69, 0xbbc4, -v79
	v_add_f16_e32 v81, v100, v81
	v_add_f16_e32 v70, v70, v46
	v_pk_mul_f16 v46, 0xb770ba95, v62 op_sel_hi:[1,0]
	v_fmamk_f16 v62, v69, 0x3b15, v92
	v_add_f16_e32 v79, v79, v84
	v_mul_f16_e32 v84, 0xbb7b, v65
	v_add_f16_e32 v81, v86, v81
	v_fma_f16 v86, v69, 0x3b15, -v92
	v_pk_fma_f16 v92, 0x3b15388b, v78, v46 op_sel_hi:[1,0,1]
	v_add_f16_e32 v62, v62, v71
	v_pk_mul_f16 v71, 0xba95bb7b, v83 op_sel_hi:[1,0]
	v_fmamk_f16 v83, v69, 0xb5ac, v84
	v_add_f16_e32 v74, v86, v74
	v_add_f16_sdwa v86, v56, v92 dst_sel:DWORD dst_unused:UNUSED_PAD src0_sel:DWORD src1_sel:WORD_1
	v_pk_fma_f16 v46, 0x3b15388b, v78, v46 op_sel_hi:[1,0,1] neg_lo:[0,0,1] neg_hi:[0,0,1]
	v_pk_fma_f16 v78, 0x388bb5ac, v67, v71 op_sel_hi:[1,0,1]
	v_add_f16_e32 v82, v83, v82
	v_pk_mul_f16 v60, 0xbbf1b3a8, v60 op_sel_hi:[1,0]
	v_add_f16_e32 v83, v56, v92
	v_pk_add_f16 v46, v56, v46 op_sel_hi:[0,1]
	v_add_f16_sdwa v56, v78, v86 dst_sel:DWORD dst_unused:UNUSED_PAD src0_sel:WORD_1 src1_sel:DWORD
	v_pk_fma_f16 v67, 0x388bb5ac, v67, v71 op_sel_hi:[1,0,1] neg_lo:[0,0,1] neg_hi:[0,0,1]
	v_pk_fma_f16 v71, 0x2fb7bbc4, v75, v60 op_sel_hi:[1,0,1]
	v_pk_mul_f16 v61, 0xbb7b394e, v61 op_sel_hi:[1,0]
	v_add_f16_e32 v78, v78, v83
	v_pk_fma_f16 v60, 0x2fb7bbc4, v75, v60 op_sel_hi:[1,0,1] neg_lo:[0,0,1] neg_hi:[0,0,1]
	v_pk_add_f16 v46, v67, v46
	v_add_f16_sdwa v56, v71, v56 dst_sel:DWORD dst_unused:UNUSED_PAD src0_sel:WORD_1 src1_sel:DWORD
	v_pk_fma_f16 v67, 0xb5acb9fd, v68, v61 op_sel_hi:[1,0,1]
	v_sub_f16_e32 v63, v64, v63
	v_pk_mul_f16 v64, 0xb94e3bf1, v65 op_sel_hi:[1,0]
	v_add_f16_e32 v65, v71, v78
	v_pk_add_f16 v46, v60, v46
	v_add_f16_sdwa v56, v67, v56 dst_sel:DWORD dst_unused:UNUSED_PAD src0_sel:WORD_1 src1_sel:DWORD
	v_pk_fma_f16 v60, 0xb5acb9fd, v68, v61 op_sel_hi:[1,0,1] neg_lo:[0,0,1] neg_hi:[0,0,1]
	v_pk_fma_f16 v61, 0xb9fd2fb7, v69, v64 op_sel_hi:[1,0,1]
	v_add_f16_e32 v65, v67, v65
	v_add_f16_e32 v0, v0, v1
	v_pk_mul_f16 v1, 0xb3a83770, v63 op_sel_hi:[1,0]
	v_pk_add_f16 v46, v60, v46
	v_add_f16_sdwa v56, v61, v56 dst_sel:DWORD dst_unused:UNUSED_PAD src0_sel:WORD_1 src1_sel:DWORD
	v_add_f16_e32 v61, v61, v65
	v_mul_f16_e32 v65, 0xb94e, v63
	v_pk_fma_f16 v60, 0xb9fd2fb7, v69, v64 op_sel_hi:[1,0,1] neg_lo:[0,0,1] neg_hi:[0,0,1]
	v_pk_fma_f16 v64, 0xbbc43b15, v0, v1 op_sel_hi:[1,0,1]
	v_pk_fma_f16 v1, 0xbbc43b15, v0, v1 op_sel_hi:[1,0,1] neg_lo:[0,0,1] neg_hi:[0,0,1]
	v_fma_f16 v84, v69, 0xb5ac, -v84
	v_fmamk_f16 v67, v0, 0xb9fd, v65
	v_pk_add_f16 v46, v60, v46
	v_add_f16_sdwa v56, v64, v56 dst_sel:DWORD dst_unused:UNUSED_PAD src0_sel:WORD_1 src1_sel:DWORD
	v_add_f16_e32 v61, v64, v61
	v_fma_f16 v64, v0, 0xb9fd, -v65
	v_add_f16_e32 v65, v67, v87
	v_mul_f16_e32 v67, 0xbb7b, v63
	v_mul_f16_e32 v60, 0x3a95, v63
	;; [unrolled: 1-line block ×3, first 2 shown]
	v_pk_add_f16 v46, v1, v46
	v_add_f16_e32 v66, v84, v66
	v_fmamk_f16 v68, v0, 0xb5ac, v67
	v_fma_f16 v67, v0, 0xb5ac, -v67
	v_fmamk_f16 v1, v0, 0x388b, v60
	v_fma_f16 v60, v0, 0x388b, -v60
	;; [unrolled: 2-line block ×3, first 2 shown]
	v_add_f16_e32 v63, v67, v74
	v_add_f16_e32 v64, v64, v70
	;; [unrolled: 1-line block ×7, first 2 shown]
	s_waitcnt lgkmcnt(0)
	s_barrier
	buffer_gl0_inv
	ds_write_b16 v57, v47
	ds_write_b16 v57, v91 offset:52
	ds_write_b16 v57, v94 offset:104
	;; [unrolled: 1-line block ×12, first 2 shown]
	ds_write_b16 v58, v90
	ds_write_b16 v58, v56 offset:52
	ds_write_b16 v58, v61 offset:104
	;; [unrolled: 1-line block ×7, first 2 shown]
	v_add_nc_u32_e32 v0, v43, v73
	v_lshrrev_b32_e32 v47, 16, v46
	ds_write_b16 v58, v63 offset:416
	ds_write_b16 v58, v60 offset:468
	;; [unrolled: 1-line block ×5, first 2 shown]
	s_waitcnt lgkmcnt(0)
	s_barrier
	buffer_gl0_inv
	v_add_nc_u32_e32 v1, v42, v48
	ds_read_u16 v58, v44 offset:2132
	ds_read_u16 v64, v44 offset:2236
	ds_read_u16 v62, v72
	ds_read_u16 v67, v0
	;; [unrolled: 1-line block ×3, first 2 shown]
	ds_read_u16 v57, v44 offset:676
	ds_read_u16 v60, v44 offset:780
	;; [unrolled: 1-line block ×11, first 2 shown]
	ds_read_u16 v56, v1
	ds_read_u16 v71, v59
	ds_read_u16 v59, v44 offset:1352
	ds_read_u16 v75, v44 offset:1196
	;; [unrolled: 1-line block ×4, first 2 shown]
	ds_read_u16 v45, v45
	ds_read_u16 v77, v44 offset:2548
                                        ; implicit-def: $vgpr42
                                        ; implicit-def: $vgpr43
	s_and_saveexec_b32 s1, s0
	s_cbranch_execz .LBB0_17
; %bb.16:
	ds_read_u16 v47, v44 offset:1300
	ds_read_u16 v42, v44 offset:1976
	ds_read_u16 v46, v49
	ds_read_u16 v43, v44 offset:2652
	v_mov_b32_e32 v54, v36
.LBB0_17:
	s_or_b32 exec_lo, exec_lo, s1
	s_and_saveexec_b32 s1, vcc_lo
	s_cbranch_execz .LBB0_20
; %bb.18:
	v_mul_i32_i24_e32 v0, 3, v41
	v_mov_b32_e32 v1, 0
	v_mad_u64_u32 v[90:91], null, s2, v26, 0
	v_mad_u64_u32 v[92:93], null, s2, v35, 0
	v_lshlrev_b64 v[78:79], 2, v[0:1]
	v_mul_i32_i24_e32 v0, 3, v40
	v_mad_u64_u32 v[94:95], null, s2, v32, 0
	v_add_nc_u32_e32 v128, 0x152, v26
	v_mad_u64_u32 v[96:97], null, s2, v34, 0
	v_lshlrev_b64 v[40:41], 2, v[0:1]
	v_mul_i32_i24_e32 v0, 3, v39
	v_add_co_u32 v78, vcc_lo, s8, v78
	v_add_co_ci_u32_e32 v79, vcc_lo, s9, v79, vcc_lo
	v_lshlrev_b64 v[81:82], 2, v[0:1]
	v_mul_i32_i24_e32 v0, 3, v37
	v_add_co_u32 v40, vcc_lo, s8, v40
	v_add_co_ci_u32_e32 v41, vcc_lo, s9, v41, vcc_lo
	v_lshlrev_b64 v[36:37], 2, v[0:1]
	v_add_co_u32 v81, vcc_lo, s8, v81
	v_add_co_ci_u32_e32 v82, vcc_lo, s9, v82, vcc_lo
	v_mul_i32_i24_e32 v0, 3, v38
	v_add_co_u32 v36, vcc_lo, s8, v36
	v_add_co_ci_u32_e32 v37, vcc_lo, s9, v37, vcc_lo
	s_clause 0x3
	global_load_dwordx3 v[39:41], v[40:41], off offset:1344
	global_load_dwordx3 v[78:80], v[78:79], off offset:1344
	global_load_dwordx3 v[81:83], v[81:82], off offset:1344
	global_load_dwordx3 v[84:86], v[36:37], off offset:1344
	v_lshlrev_b64 v[36:37], 2, v[0:1]
	v_mul_u32_u24_e32 v0, 3, v26
	v_add_nc_u32_e32 v129, 0x3f6, v26
	v_mad_u64_u32 v[98:99], null, s2, v31, 0
	v_add_nc_u32_e32 v130, 0x186, v26
	v_add_co_u32 v36, vcc_lo, s8, v36
	v_add_co_ci_u32_e32 v37, vcc_lo, s9, v37, vcc_lo
	v_lshlrev_b32_e32 v0, 2, v0
	v_add_nc_u32_e32 v132, 0x1ba, v26
	v_mad_u64_u32 v[100:101], null, s2, v33, 0
	s_clause 0x1
	global_load_dwordx3 v[36:38], v[36:37], off offset:1344
	global_load_dwordx3 v[87:89], v0, s[8:9] offset:1344
	v_add_nc_u32_e32 v134, 0x1ee, v26
	v_mad_u64_u32 v[102:103], null, s2, v30, 0
	v_mad_u64_u32 v[106:107], null, s2, v128, 0
	v_mov_b32_e32 v0, v91
	v_mad_u64_u32 v[108:109], null, s2, v129, 0
	v_mov_b32_e32 v44, v93
	v_add_nc_u32_e32 v131, 0x42a, v26
	v_add_nc_u32_e32 v133, 0x45e, v26
	v_mad_u64_u32 v[110:111], null, s2, v130, 0
	v_mad_u64_u32 v[114:115], null, s2, v132, 0
	;; [unrolled: 1-line block ×3, first 2 shown]
	v_mov_b32_e32 v49, v95
	v_mov_b32_e32 v91, v97
	;; [unrolled: 1-line block ×4, first 2 shown]
	v_mad_u64_u32 v[120:121], null, s3, v26, v[0:1]
	s_waitcnt lgkmcnt(1)
	v_mad_u64_u32 v[121:122], null, s3, v35, v[44:45]
	v_mad_u64_u32 v[112:113], null, s2, v131, 0
	;; [unrolled: 1-line block ×3, first 2 shown]
	v_mov_b32_e32 v97, v103
	v_mad_u64_u32 v[122:123], null, s3, v32, v[49:50]
	v_mov_b32_e32 v0, v107
	v_mad_u64_u32 v[123:124], null, s3, v34, v[91:92]
	;; [unrolled: 2-line block ×3, first 2 shown]
	v_mov_b32_e32 v32, v111
	v_mov_b32_e32 v31, v115
	v_mad_u64_u32 v[125:126], null, s3, v33, v[95:96]
	v_mov_b32_e32 v33, v119
	v_mad_u64_u32 v[126:127], null, s3, v30, v[97:98]
	v_mad_u64_u32 v[127:128], null, s3, v128, v[0:1]
	v_mov_b32_e32 v34, v113
	v_mov_b32_e32 v44, v117
	v_mad_u64_u32 v[30:31], null, s3, v132, v[31:32]
	v_mov_b32_e32 v99, v124
	v_mov_b32_e32 v101, v125
	;; [unrolled: 1-line block ×5, first 2 shown]
	v_add_co_u32 v24, vcc_lo, s12, v24
	v_mov_b32_e32 v115, v30
	v_lshlrev_b64 v[90:91], 2, v[90:91]
	v_mov_b32_e32 v95, v122
	v_add_co_ci_u32_e32 v25, vcc_lo, s13, v25, vcc_lo
	v_lshlrev_b64 v[92:93], 2, v[92:93]
	v_mov_b32_e32 v97, v123
	v_lshlrev_b64 v[94:95], 2, v[94:95]
	v_add_co_u32 v90, vcc_lo, v24, v90
	v_add_co_ci_u32_e32 v91, vcc_lo, v25, v91, vcc_lo
	v_lshlrev_b64 v[96:97], 2, v[96:97]
	v_add_co_u32 v92, vcc_lo, v24, v92
	v_add_co_ci_u32_e32 v93, vcc_lo, v25, v93, vcc_lo
	v_add_co_u32 v94, vcc_lo, v24, v94
	v_add_co_ci_u32_e32 v95, vcc_lo, v25, v95, vcc_lo
	v_add_co_u32 v96, vcc_lo, v24, v96
	v_add_co_ci_u32_e32 v97, vcc_lo, v25, v97, vcc_lo
	v_mad_u64_u32 v[104:105], null, s2, v29, 0
	v_mov_b32_e32 v103, v126
	s_waitcnt vmcnt(4)
	v_lshrrev_b32_e32 v0, 16, v78
	v_mul_f16_e32 v49, v75, v78
	v_fmac_f16_e32 v49, v52, v0
	v_mul_f16_e32 v0, v75, v0
	v_lshrrev_b32_e32 v75, 16, v41
	v_fma_f16 v0, v52, v78, -v0
	v_mul_f16_e32 v52, v74, v75
	s_waitcnt vmcnt(1)
	v_mad_u64_u32 v[128:129], null, s3, v129, v[35:36]
	v_mad_u64_u32 v[129:130], null, s3, v130, v[32:33]
	;; [unrolled: 1-line block ×4, first 2 shown]
	v_mov_b32_e32 v109, v128
	v_lshrrev_b32_e32 v35, 16, v80
	v_mov_b32_e32 v111, v129
	v_mul_f16_sdwa v44, v76, v79 dst_sel:DWORD dst_unused:UNUSED_PAD src0_sel:DWORD src1_sel:WORD_1
	v_mov_b32_e32 v113, v34
	v_mad_u64_u32 v[32:33], null, s3, v134, v[33:34]
	v_mov_b32_e32 v117, v31
	v_lshlrev_b64 v[30:31], 2, v[106:107]
	v_lshlrev_b64 v[106:107], 2, v[110:111]
	;; [unrolled: 1-line block ×3, first 2 shown]
	s_waitcnt lgkmcnt(0)
	v_mul_f16_e32 v114, v77, v80
	v_mul_f16_sdwa v115, v55, v79 dst_sel:DWORD dst_unused:UNUSED_PAD src0_sel:DWORD src1_sel:WORD_1
	v_lshlrev_b64 v[33:34], 2, v[98:99]
	v_lshlrev_b64 v[98:99], 2, v[100:101]
	;; [unrolled: 1-line block ×5, first 2 shown]
	v_fma_f16 v44, v55, v79, -v44
	v_fmac_f16_e32 v114, v53, v35
	v_fmac_f16_e32 v115, v76, v79
	v_mul_f16_e32 v35, v77, v35
	v_lshrrev_b32_e32 v55, 16, v39
	v_mul_f16_sdwa v76, v73, v40 dst_sel:DWORD dst_unused:UNUSED_PAD src0_sel:DWORD src1_sel:WORD_1
	v_mul_f16_e32 v77, v72, v39
	v_mul_f16_e32 v79, v74, v41
	v_mul_f16_sdwa v116, v51, v40 dst_sel:DWORD dst_unused:UNUSED_PAD src0_sel:DWORD src1_sel:WORD_1
	v_sub_f16_e32 v114, v49, v114
	v_sub_f16_e32 v115, v71, v115
	v_fma_f16 v35, v53, v80, -v35
	v_fma_f16 v51, v51, v40, -v76
	v_fmac_f16_e32 v77, v21, v55
	v_fmac_f16_e32 v79, v23, v75
	;; [unrolled: 1-line block ×3, first 2 shown]
	v_mul_f16_e32 v40, v72, v55
	v_lshrrev_b32_e32 v53, 16, v83
	v_mul_f16_sdwa v55, v69, v82 dst_sel:DWORD dst_unused:UNUSED_PAD src0_sel:DWORD src1_sel:WORD_1
	v_mul_f16_sdwa v72, v20, v81 dst_sel:DWORD dst_unused:UNUSED_PAD src0_sel:DWORD src1_sel:WORD_1
	v_mul_f16_e32 v73, v70, v83
	v_mul_f16_sdwa v74, v22, v82 dst_sel:DWORD dst_unused:UNUSED_PAD src0_sel:DWORD src1_sel:WORD_1
	v_sub_f16_e32 v44, v50, v44
	v_mul_f16_sdwa v75, v68, v81 dst_sel:DWORD dst_unused:UNUSED_PAD src0_sel:DWORD src1_sel:WORD_1
	v_sub_f16_e32 v35, v0, v35
	v_fma_f16 v71, v71, 2.0, -v115
	v_fma_f16 v49, v49, 2.0, -v114
	v_sub_f16_e32 v51, v17, v51
	v_sub_f16_e32 v78, v77, v79
	v_fma_f16 v21, v21, v39, -v40
	v_fma_f16 v23, v23, v41, -v52
	;; [unrolled: 1-line block ×3, first 2 shown]
	v_fmac_f16_e32 v72, v68, v81
	v_fmac_f16_e32 v73, v19, v53
	v_mul_f16_e32 v39, v70, v53
	v_mul_f16_sdwa v40, v66, v85 dst_sel:DWORD dst_unused:UNUSED_PAD src0_sel:DWORD src1_sel:WORD_1
	v_mul_f16_sdwa v41, v16, v84 dst_sel:DWORD dst_unused:UNUSED_PAD src0_sel:DWORD src1_sel:WORD_1
	;; [unrolled: 1-line block ×6, first 2 shown]
	v_sub_f16_e32 v79, v67, v116
	v_fmac_f16_e32 v74, v69, v82
	v_fma_f16 v50, v50, 2.0, -v44
	v_fma_f16 v20, v20, v81, -v75
	v_add_f16_e32 v69, v115, v35
	v_fma_f16 v0, v0, 2.0, -v35
	v_sub_f16_e32 v35, v71, v49
	v_sub_f16_e32 v49, v51, v78
	;; [unrolled: 1-line block ×3, first 2 shown]
	v_fma_f16 v70, v77, 2.0, -v78
	v_fma_f16 v19, v19, v83, -v39
	v_fma_f16 v18, v18, v85, -v40
	v_fmac_f16_e32 v41, v65, v84
	v_fmac_f16_e32 v52, v64, v86
	;; [unrolled: 1-line block ×3, first 2 shown]
	v_fma_f16 v16, v16, v84, -v55
	v_fma_f16 v14, v14, v86, -v68
	v_mul_f16_sdwa v39, v61, v37 dst_sel:DWORD dst_unused:UNUSED_PAD src0_sel:DWORD src1_sel:WORD_1
	v_mul_f16_sdwa v40, v9, v36 dst_sel:DWORD dst_unused:UNUSED_PAD src0_sel:DWORD src1_sel:WORD_1
	;; [unrolled: 1-line block ×3, first 2 shown]
	s_waitcnt vmcnt(0)
	v_mul_f16_sdwa v68, v59, v88 dst_sel:DWORD dst_unused:UNUSED_PAD src0_sel:DWORD src1_sel:WORD_1
	v_mul_f16_sdwa v75, v7, v87 dst_sel:DWORD dst_unused:UNUSED_PAD src0_sel:DWORD src1_sel:WORD_1
	;; [unrolled: 1-line block ×6, first 2 shown]
	v_fma_f16 v67, v67, 2.0, -v79
	v_sub_f16_e32 v73, v72, v73
	v_sub_f16_e32 v74, v62, v74
	v_mul_f16_sdwa v64, v11, v37 dst_sel:DWORD dst_unused:UNUSED_PAD src0_sel:DWORD src1_sel:WORD_1
	v_mul_f16_sdwa v65, v60, v36 dst_sel:DWORD dst_unused:UNUSED_PAD src0_sel:DWORD src1_sel:WORD_1
	;; [unrolled: 1-line block ×3, first 2 shown]
	v_fma_f16 v17, v17, 2.0, -v51
	v_sub_f16_e32 v22, v15, v22
	v_sub_f16_e32 v83, v50, v0
	v_fma_f16 v0, v21, 2.0, -v23
	v_sub_f16_e32 v19, v20, v19
	v_sub_f16_e32 v18, v8, v18
	;; [unrolled: 1-line block ×5, first 2 shown]
	v_fma_f16 v11, v11, v37, -v39
	v_fmac_f16_e32 v40, v60, v36
	v_fmac_f16_e32 v55, v58, v38
	v_fma_f16 v12, v12, v88, -v68
	v_fmac_f16_e32 v75, v57, v87
	v_fmac_f16_e32 v77, v63, v89
	;; [unrolled: 1-line block ×3, first 2 shown]
	v_fma_f16 v7, v7, v87, -v80
	v_fma_f16 v10, v10, v89, -v81
	v_sub_f16_e32 v21, v67, v70
	v_fma_f16 v62, v62, 2.0, -v74
	v_fma_f16 v70, v72, 2.0, -v73
	v_fmac_f16_e32 v64, v61, v37
	v_fma_f16 v9, v9, v36, -v65
	v_fma_f16 v13, v13, v38, -v66
	v_fma_f16 v15, v15, 2.0, -v22
	v_fma_f16 v36, v50, 2.0, -v83
	v_sub_f16_e32 v38, v17, v0
	v_add_f16_e32 v50, v74, v19
	v_fma_f16 v0, v20, 2.0, -v19
	v_sub_f16_e32 v19, v18, v52
	v_add_f16_e32 v57, v53, v14
	v_fma_f16 v14, v16, 2.0, -v14
	v_fma_f16 v16, v56, 2.0, -v53
	;; [unrolled: 1-line block ×3, first 2 shown]
	v_sub_f16_e32 v11, v6, v11
	v_sub_f16_e32 v52, v40, v55
	;; [unrolled: 1-line block ×6, first 2 shown]
	v_add_co_u32 v33, vcc_lo, v24, v33
	v_add_co_ci_u32_e32 v34, vcc_lo, v25, v34, vcc_lo
	v_sub_f16_e32 v20, v62, v70
	v_sub_f16_e32 v55, v45, v64
	;; [unrolled: 1-line block ×3, first 2 shown]
	v_add_co_u32 v98, vcc_lo, v24, v98
	v_fma_f16 v8, v8, 2.0, -v18
	v_sub_f16_e32 v60, v15, v0
	v_fma_f16 v0, v18, 2.0, -v19
	v_fma_f16 v18, v53, 2.0, -v57
	v_sub_f16_e32 v53, v11, v52
	v_fma_f16 v40, v40, 2.0, -v52
	v_add_f16_e32 v52, v58, v10
	v_fma_f16 v5, v5, 2.0, -v12
	v_fma_f16 v7, v7, 2.0, -v10
	v_fma_f16 v10, v48, 2.0, -v58
	v_fma_f16 v48, v75, 2.0, -v56
	v_add_co_ci_u32_e32 v99, vcc_lo, v25, v99, vcc_lo
	v_add_co_u32 v30, vcc_lo, v24, v30
	v_fma_f16 v61, v62, 2.0, -v20
	v_add_f16_e32 v62, v55, v13
	v_fma_f16 v6, v6, 2.0, -v11
	v_fma_f16 v9, v9, 2.0, -v13
	;; [unrolled: 1-line block ×3, first 2 shown]
	v_add_co_ci_u32_e32 v31, vcc_lo, v25, v31, vcc_lo
	v_sub_f16_e32 v7, v5, v7
	v_sub_f16_e32 v48, v10, v48
	v_add_co_u32 v100, vcc_lo, v24, v100
	v_sub_f16_e32 v45, v12, v56
	v_add_co_ci_u32_e32 v101, vcc_lo, v25, v101, vcc_lo
	v_add_co_u32 v106, vcc_lo, v24, v106
	v_sub_f16_e32 v9, v6, v9
	v_sub_f16_e32 v40, v13, v40
	;; [unrolled: 1-line block ×4, first 2 shown]
	v_fma_f16 v5, v5, 2.0, -v7
	v_fma_f16 v10, v10, 2.0, -v48
	v_add_co_ci_u32_e32 v107, vcc_lo, v25, v107, vcc_lo
	v_fma_f16 v12, v12, 2.0, -v45
	v_fma_f16 v56, v58, 2.0, -v52
	v_add_co_u32 v108, vcc_lo, v24, v108
	v_add_co_ci_u32_e32 v109, vcc_lo, v25, v109, vcc_lo
	v_fma_f16 v6, v6, 2.0, -v9
	v_fma_f16 v13, v13, 2.0, -v40
	v_add_co_u32 v110, vcc_lo, v24, v110
	v_fma_f16 v8, v8, 2.0, -v14
	v_fma_f16 v16, v16, 2.0, -v41
	;; [unrolled: 1-line block ×4, first 2 shown]
	v_pack_b32_f16 v5, v5, v10
	v_pack_b32_f16 v12, v12, v56
	v_add_co_ci_u32_e32 v111, vcc_lo, v25, v111, vcc_lo
	v_pack_b32_f16 v7, v7, v48
	v_add_co_u32 v112, vcc_lo, v24, v112
	v_pack_b32_f16 v45, v45, v52
	v_pack_b32_f16 v6, v6, v13
	v_add_co_ci_u32_e32 v113, vcc_lo, v25, v113, vcc_lo
	v_pack_b32_f16 v19, v19, v57
	v_pack_b32_f16 v52, v53, v62
	;; [unrolled: 1-line block ×7, first 2 shown]
	global_store_dword v[90:91], v5, off
	global_store_dword v[30:31], v12, off
	;; [unrolled: 1-line block ×12, first 2 shown]
	v_add_nc_u32_e32 v12, 0x492, v26
	v_mul_hi_u32 v11, 0x60f25deb, v28
	v_mov_b32_e32 v0, v105
	v_mov_b32_e32 v119, v32
	v_lshlrev_b64 v[5:6], 2, v[102:103]
	v_mad_u64_u32 v[7:8], null, s2, v12, 0
	v_mad_u64_u32 v[9:10], null, s3, v29, v[0:1]
	v_lshrrev_b32_e32 v13, 7, v11
	v_add_f16_e32 v84, v79, v23
	v_sub_f16_e32 v23, v22, v73
	v_lshlrev_b64 v[10:11], 2, v[118:119]
	v_mov_b32_e32 v0, v8
	v_mad_u32_u24 v28, 0x3f6, v13, v28
	v_fma_f16 v59, v17, 2.0, -v38
	v_fma_f16 v22, v22, 2.0, -v23
	;; [unrolled: 1-line block ×3, first 2 shown]
	v_add_co_u32 v5, vcc_lo, v24, v5
	v_add_co_ci_u32_e32 v6, vcc_lo, v25, v6, vcc_lo
	v_mov_b32_e32 v105, v9
	v_mad_u64_u32 v[8:9], null, s3, v12, v[0:1]
	v_mad_u64_u32 v[12:13], null, s2, v28, 0
	v_add_co_u32 v9, vcc_lo, v24, v10
	v_add_co_ci_u32_e32 v10, vcc_lo, v25, v11, vcc_lo
	v_pack_b32_f16 v11, v22, v17
	v_add_nc_u32_e32 v22, 0x152, v28
	v_mov_b32_e32 v0, v13
	v_fma_f16 v15, v15, 2.0, -v60
	v_lshlrev_b64 v[7:8], 2, v[7:8]
	v_add_nc_u32_e32 v30, 0x2a4, v28
	v_mad_u64_u32 v[16:17], null, s2, v22, 0
	v_mad_u64_u32 v[18:19], null, s3, v28, v[0:1]
	v_pack_b32_f16 v29, v15, v61
	v_lshlrev_b64 v[14:15], 2, v[104:105]
	v_pack_b32_f16 v20, v60, v20
	global_store_dword v[5:6], v29, off
	global_store_dword v[9:10], v11, off
	v_mov_b32_e32 v0, v17
	v_add_co_u32 v14, vcc_lo, v24, v14
	v_mov_b32_e32 v13, v18
	v_add_co_ci_u32_e32 v15, vcc_lo, v25, v15, vcc_lo
	v_mad_u64_u32 v[17:18], null, s3, v22, v[0:1]
	v_add_co_u32 v7, vcc_lo, v24, v7
	v_mad_u64_u32 v[18:19], null, s2, v30, 0
	v_add_co_ci_u32_e32 v8, vcc_lo, v25, v8, vcc_lo
	v_pack_b32_f16 v0, v23, v50
	v_lshlrev_b64 v[5:6], 2, v[12:13]
	global_store_dword v[14:15], v20, off
	global_store_dword v[7:8], v0, off
	v_lshlrev_b64 v[7:8], 2, v[16:17]
	v_mov_b32_e32 v0, v19
	v_mul_hi_u32 v11, 0x60f25deb, v27
	v_fma_f16 v51, v51, 2.0, -v49
	v_fma_f16 v37, v79, 2.0, -v84
	v_fma_f16 v39, v67, 2.0, -v21
	v_add_co_u32 v5, vcc_lo, v24, v5
	v_add_co_ci_u32_e32 v6, vcc_lo, v25, v6, vcc_lo
	v_add_co_u32 v7, vcc_lo, v24, v7
	v_mad_u64_u32 v[9:10], null, s3, v30, v[0:1]
	v_pack_b32_f16 v0, v59, v39
	v_add_co_ci_u32_e32 v8, vcc_lo, v25, v8, vcc_lo
	v_pack_b32_f16 v10, v51, v37
	v_add_nc_u32_e32 v13, 0x3f6, v28
	v_lshrrev_b32_e32 v11, 7, v11
	global_store_dword v[5:6], v0, off
	v_mov_b32_e32 v19, v9
	global_store_dword v[7:8], v10, off
	v_mad_u64_u32 v[7:8], null, s2, v13, 0
	v_mad_u32_u24 v17, 0x3f6, v11, v27
	v_lshlrev_b64 v[5:6], 2, v[18:19]
	v_sub_f16_e32 v76, v44, v114
	v_fma_f16 v71, v71, 2.0, -v35
	v_fma_f16 v82, v115, 2.0, -v69
	v_mad_u64_u32 v[9:10], null, s2, v17, 0
	v_mov_b32_e32 v0, v8
	v_add_nc_u32_e32 v18, 0x152, v17
	v_add_nc_u32_e32 v19, 0x2a4, v17
	v_add_co_u32 v5, vcc_lo, v24, v5
	v_mad_u64_u32 v[13:14], null, s3, v13, v[0:1]
	v_mov_b32_e32 v8, v10
	v_mad_u64_u32 v[11:12], null, s2, v18, 0
	v_add_co_ci_u32_e32 v6, vcc_lo, v25, v6, vcc_lo
	v_mad_u64_u32 v[14:15], null, s3, v17, v[8:9]
	v_pack_b32_f16 v10, v38, v21
	v_mad_u64_u32 v[15:16], null, s2, v19, 0
	v_mov_b32_e32 v8, v13
	v_add_nc_u32_e32 v17, 0x3f6, v17
	v_mov_b32_e32 v0, v12
	global_store_dword v[5:6], v10, off
	v_mov_b32_e32 v10, v14
	v_lshlrev_b64 v[5:6], 2, v[7:8]
	v_mad_u64_u32 v[7:8], null, s2, v17, 0
	v_mad_u64_u32 v[12:13], null, s3, v18, v[0:1]
	v_mov_b32_e32 v0, v16
	v_add_co_u32 v5, vcc_lo, v24, v5
	v_add_co_ci_u32_e32 v6, vcc_lo, v25, v6, vcc_lo
	v_mad_u64_u32 v[13:14], null, s3, v19, v[0:1]
	v_mov_b32_e32 v0, v8
	v_lshlrev_b64 v[8:9], 2, v[9:10]
	v_lshlrev_b64 v[10:11], 2, v[11:12]
	v_fma_f16 v44, v44, 2.0, -v76
	v_pack_b32_f16 v19, v49, v84
	v_mad_u64_u32 v[17:18], null, s3, v17, v[0:1]
	v_mov_b32_e32 v16, v13
	v_add_co_u32 v12, vcc_lo, v24, v8
	v_add_co_ci_u32_e32 v13, vcc_lo, v25, v9, vcc_lo
	v_lshlrev_b64 v[14:15], 2, v[15:16]
	v_mov_b32_e32 v8, v17
	v_add_co_u32 v9, vcc_lo, v24, v10
	v_add_co_ci_u32_e32 v10, vcc_lo, v25, v11, vcc_lo
	v_lshlrev_b64 v[7:8], 2, v[7:8]
	v_add_co_u32 v14, vcc_lo, v24, v14
	v_pack_b32_f16 v0, v36, v71
	v_add_co_ci_u32_e32 v15, vcc_lo, v25, v15, vcc_lo
	v_pack_b32_f16 v11, v44, v82
	v_add_co_u32 v7, vcc_lo, v24, v7
	v_pack_b32_f16 v16, v83, v35
	v_add_co_ci_u32_e32 v8, vcc_lo, v25, v8, vcc_lo
	v_pack_b32_f16 v17, v76, v69
	global_store_dword v[5:6], v19, off
	global_store_dword v[12:13], v0, off
	;; [unrolled: 1-line block ×5, first 2 shown]
	s_and_b32 exec_lo, exec_lo, s0
	s_cbranch_execz .LBB0_20
; %bb.19:
	v_mul_i32_i24_e32 v0, 3, v54
	v_add_nc_u32_e32 v14, 0x138, v26
	v_add_nc_u32_e32 v16, 0x28a, v26
	;; [unrolled: 1-line block ×4, first 2 shown]
	v_lshlrev_b64 v[0:1], 2, v[0:1]
	v_mad_u64_u32 v[8:9], null, s2, v16, 0
	v_mad_u64_u32 v[10:11], null, s2, v17, 0
	v_add_co_u32 v0, vcc_lo, s8, v0
	v_add_co_ci_u32_e32 v1, vcc_lo, s9, v1, vcc_lo
	v_mad_u64_u32 v[12:13], null, s2, v18, 0
	global_load_dwordx3 v[5:7], v[0:1], off offset:1344
	v_mad_u64_u32 v[0:1], null, s2, v14, 0
	v_mad_u64_u32 v[14:15], null, s3, v14, v[1:2]
	;; [unrolled: 1-line block ×5, first 2 shown]
	v_mov_b32_e32 v1, v14
	v_lshrrev_b32_e32 v14, 16, v2
	v_mov_b32_e32 v9, v15
	v_mov_b32_e32 v11, v16
	v_lshlrev_b64 v[0:1], 2, v[0:1]
	v_mov_b32_e32 v13, v17
	v_lshlrev_b64 v[8:9], 2, v[8:9]
	v_lshlrev_b64 v[10:11], 2, v[10:11]
	v_add_co_u32 v0, vcc_lo, v24, v0
	v_add_co_ci_u32_e32 v1, vcc_lo, v25, v1, vcc_lo
	s_waitcnt vmcnt(0)
	v_mul_f16_sdwa v15, v47, v5 dst_sel:DWORD dst_unused:UNUSED_PAD src0_sel:DWORD src1_sel:WORD_1
	v_mul_f16_sdwa v16, v14, v5 dst_sel:DWORD dst_unused:UNUSED_PAD src0_sel:DWORD src1_sel:WORD_1
	;; [unrolled: 1-line block ×6, first 2 shown]
	v_fma_f16 v14, v14, v5, -v15
	v_fmac_f16_e32 v16, v47, v5
	v_fma_f16 v5, v3, v6, -v17
	v_fmac_f16_e32 v18, v42, v6
	;; [unrolled: 2-line block ×3, first 2 shown]
	v_lshlrev_b64 v[3:4], 2, v[12:13]
	v_sub_f16_e32 v12, v2, v5
	v_sub_f16_e32 v13, v46, v18
	;; [unrolled: 1-line block ×4, first 2 shown]
	v_add_co_u32 v5, vcc_lo, v24, v8
	v_fma_f16 v2, v2, 2.0, -v12
	v_fma_f16 v17, v46, 2.0, -v13
	;; [unrolled: 1-line block ×4, first 2 shown]
	v_add_co_ci_u32_e32 v6, vcc_lo, v25, v9, vcc_lo
	v_sub_f16_e32 v9, v12, v15
	v_add_f16_e32 v15, v13, v7
	v_sub_f16_e32 v14, v2, v14
	v_sub_f16_e32 v16, v17, v16
	v_add_co_u32 v7, vcc_lo, v24, v10
	v_add_co_ci_u32_e32 v8, vcc_lo, v25, v11, vcc_lo
	v_fma_f16 v10, v12, 2.0, -v9
	v_fma_f16 v11, v13, 2.0, -v15
	;; [unrolled: 1-line block ×4, first 2 shown]
	v_add_co_u32 v2, vcc_lo, v24, v3
	v_add_co_ci_u32_e32 v3, vcc_lo, v25, v4, vcc_lo
	v_pack_b32_f16 v4, v12, v13
	v_pack_b32_f16 v10, v10, v11
	;; [unrolled: 1-line block ×4, first 2 shown]
	global_store_dword v[0:1], v4, off
	global_store_dword v[5:6], v10, off
	;; [unrolled: 1-line block ×4, first 2 shown]
.LBB0_20:
	s_endpgm
	.section	.rodata,"a",@progbits
	.p2align	6, 0x0
	.amdhsa_kernel fft_rtc_fwd_len1352_factors_2_13_13_4_wgs_52_tpt_52_halfLds_half_ip_CI_sbrr_dirReg
		.amdhsa_group_segment_fixed_size 0
		.amdhsa_private_segment_fixed_size 0
		.amdhsa_kernarg_size 88
		.amdhsa_user_sgpr_count 6
		.amdhsa_user_sgpr_private_segment_buffer 1
		.amdhsa_user_sgpr_dispatch_ptr 0
		.amdhsa_user_sgpr_queue_ptr 0
		.amdhsa_user_sgpr_kernarg_segment_ptr 1
		.amdhsa_user_sgpr_dispatch_id 0
		.amdhsa_user_sgpr_flat_scratch_init 0
		.amdhsa_user_sgpr_private_segment_size 0
		.amdhsa_wavefront_size32 1
		.amdhsa_uses_dynamic_stack 0
		.amdhsa_system_sgpr_private_segment_wavefront_offset 0
		.amdhsa_system_sgpr_workgroup_id_x 1
		.amdhsa_system_sgpr_workgroup_id_y 0
		.amdhsa_system_sgpr_workgroup_id_z 0
		.amdhsa_system_sgpr_workgroup_info 0
		.amdhsa_system_vgpr_workitem_id 0
		.amdhsa_next_free_vgpr 138
		.amdhsa_next_free_sgpr 23
		.amdhsa_reserve_vcc 1
		.amdhsa_reserve_flat_scratch 0
		.amdhsa_float_round_mode_32 0
		.amdhsa_float_round_mode_16_64 0
		.amdhsa_float_denorm_mode_32 3
		.amdhsa_float_denorm_mode_16_64 3
		.amdhsa_dx10_clamp 1
		.amdhsa_ieee_mode 1
		.amdhsa_fp16_overflow 0
		.amdhsa_workgroup_processor_mode 1
		.amdhsa_memory_ordered 1
		.amdhsa_forward_progress 0
		.amdhsa_shared_vgpr_count 0
		.amdhsa_exception_fp_ieee_invalid_op 0
		.amdhsa_exception_fp_denorm_src 0
		.amdhsa_exception_fp_ieee_div_zero 0
		.amdhsa_exception_fp_ieee_overflow 0
		.amdhsa_exception_fp_ieee_underflow 0
		.amdhsa_exception_fp_ieee_inexact 0
		.amdhsa_exception_int_div_zero 0
	.end_amdhsa_kernel
	.text
.Lfunc_end0:
	.size	fft_rtc_fwd_len1352_factors_2_13_13_4_wgs_52_tpt_52_halfLds_half_ip_CI_sbrr_dirReg, .Lfunc_end0-fft_rtc_fwd_len1352_factors_2_13_13_4_wgs_52_tpt_52_halfLds_half_ip_CI_sbrr_dirReg
                                        ; -- End function
	.section	.AMDGPU.csdata,"",@progbits
; Kernel info:
; codeLenInByte = 22420
; NumSgprs: 25
; NumVgprs: 138
; ScratchSize: 0
; MemoryBound: 0
; FloatMode: 240
; IeeeMode: 1
; LDSByteSize: 0 bytes/workgroup (compile time only)
; SGPRBlocks: 3
; VGPRBlocks: 17
; NumSGPRsForWavesPerEU: 25
; NumVGPRsForWavesPerEU: 138
; Occupancy: 7
; WaveLimiterHint : 1
; COMPUTE_PGM_RSRC2:SCRATCH_EN: 0
; COMPUTE_PGM_RSRC2:USER_SGPR: 6
; COMPUTE_PGM_RSRC2:TRAP_HANDLER: 0
; COMPUTE_PGM_RSRC2:TGID_X_EN: 1
; COMPUTE_PGM_RSRC2:TGID_Y_EN: 0
; COMPUTE_PGM_RSRC2:TGID_Z_EN: 0
; COMPUTE_PGM_RSRC2:TIDIG_COMP_CNT: 0
	.text
	.p2alignl 6, 3214868480
	.fill 48, 4, 3214868480
	.type	__hip_cuid_56101e11958f2a7b,@object ; @__hip_cuid_56101e11958f2a7b
	.section	.bss,"aw",@nobits
	.globl	__hip_cuid_56101e11958f2a7b
__hip_cuid_56101e11958f2a7b:
	.byte	0                               ; 0x0
	.size	__hip_cuid_56101e11958f2a7b, 1

	.ident	"AMD clang version 19.0.0git (https://github.com/RadeonOpenCompute/llvm-project roc-6.4.0 25133 c7fe45cf4b819c5991fe208aaa96edf142730f1d)"
	.section	".note.GNU-stack","",@progbits
	.addrsig
	.addrsig_sym __hip_cuid_56101e11958f2a7b
	.amdgpu_metadata
---
amdhsa.kernels:
  - .args:
      - .actual_access:  read_only
        .address_space:  global
        .offset:         0
        .size:           8
        .value_kind:     global_buffer
      - .offset:         8
        .size:           8
        .value_kind:     by_value
      - .actual_access:  read_only
        .address_space:  global
        .offset:         16
        .size:           8
        .value_kind:     global_buffer
      - .actual_access:  read_only
        .address_space:  global
        .offset:         24
        .size:           8
        .value_kind:     global_buffer
      - .offset:         32
        .size:           8
        .value_kind:     by_value
      - .actual_access:  read_only
        .address_space:  global
        .offset:         40
        .size:           8
        .value_kind:     global_buffer
      - .actual_access:  read_only
        .address_space:  global
        .offset:         48
        .size:           8
        .value_kind:     global_buffer
      - .offset:         56
        .size:           4
        .value_kind:     by_value
      - .actual_access:  read_only
        .address_space:  global
        .offset:         64
        .size:           8
        .value_kind:     global_buffer
      - .actual_access:  read_only
        .address_space:  global
        .offset:         72
        .size:           8
        .value_kind:     global_buffer
      - .address_space:  global
        .offset:         80
        .size:           8
        .value_kind:     global_buffer
    .group_segment_fixed_size: 0
    .kernarg_segment_align: 8
    .kernarg_segment_size: 88
    .language:       OpenCL C
    .language_version:
      - 2
      - 0
    .max_flat_workgroup_size: 52
    .name:           fft_rtc_fwd_len1352_factors_2_13_13_4_wgs_52_tpt_52_halfLds_half_ip_CI_sbrr_dirReg
    .private_segment_fixed_size: 0
    .sgpr_count:     25
    .sgpr_spill_count: 0
    .symbol:         fft_rtc_fwd_len1352_factors_2_13_13_4_wgs_52_tpt_52_halfLds_half_ip_CI_sbrr_dirReg.kd
    .uniform_work_group_size: 1
    .uses_dynamic_stack: false
    .vgpr_count:     138
    .vgpr_spill_count: 0
    .wavefront_size: 32
    .workgroup_processor_mode: 1
amdhsa.target:   amdgcn-amd-amdhsa--gfx1030
amdhsa.version:
  - 1
  - 2
...

	.end_amdgpu_metadata
